;; amdgpu-corpus repo=ROCm/rocFFT kind=compiled arch=gfx906 opt=O3
	.text
	.amdgcn_target "amdgcn-amd-amdhsa--gfx906"
	.amdhsa_code_object_version 6
	.protected	bluestein_single_fwd_len110_dim1_dp_op_CI_CI ; -- Begin function bluestein_single_fwd_len110_dim1_dp_op_CI_CI
	.globl	bluestein_single_fwd_len110_dim1_dp_op_CI_CI
	.p2align	8
	.type	bluestein_single_fwd_len110_dim1_dp_op_CI_CI,@function
bluestein_single_fwd_len110_dim1_dp_op_CI_CI: ; @bluestein_single_fwd_len110_dim1_dp_op_CI_CI
; %bb.0:
	v_mul_u32_u24_e32 v1, 0x1746, v0
	s_mov_b64 s[46:47], s[2:3]
	s_load_dwordx4 s[16:19], s[4:5], 0x28
	v_lshrrev_b32_e32 v1, 16, v1
	s_mov_b64 s[44:45], s[0:1]
	v_mad_u64_u32 v[156:157], s[0:1], s6, 18, v[1:2]
	v_mov_b32_e32 v157, 0
	s_add_u32 s44, s44, s7
	s_waitcnt lgkmcnt(0)
	v_cmp_gt_u64_e32 vcc, s[16:17], v[156:157]
	s_addc_u32 s45, s45, 0
	s_and_saveexec_b64 s[0:1], vcc
	s_cbranch_execz .LBB0_10
; %bb.1:
	s_load_dwordx4 s[0:3], s[4:5], 0x18
	s_load_dwordx4 s[12:15], s[4:5], 0x0
	v_mul_lo_u16_e32 v1, 11, v1
	v_sub_u16_e32 v223, v0, v1
	v_lshlrev_b32_e32 v226, 4, v223
	s_waitcnt lgkmcnt(0)
	s_load_dwordx4 s[8:11], s[0:1], 0x0
	global_load_dwordx4 v[240:243], v226, s[12:13] offset:880
	s_mov_b32 s16, 0x134454ff
	s_mov_b32 s17, 0x3fee6f0e
                                        ; implicit-def: $vgpr152_vgpr153
	s_waitcnt lgkmcnt(0)
	v_mad_u64_u32 v[0:1], s[0:1], s10, v156, 0
	v_mad_u64_u32 v[2:3], s[0:1], s8, v223, 0
	s_mul_hi_u32 s7, s8, 0xfffffd40
	s_mul_i32 s6, s9, 0xfffffd40
	v_mad_u64_u32 v[4:5], s[0:1], s11, v156, v[1:2]
	s_sub_i32 s7, s7, s8
	s_add_i32 s6, s7, s6
	v_mad_u64_u32 v[5:6], s[0:1], s9, v223, v[3:4]
	v_mov_b32_e32 v1, v4
	v_lshlrev_b64 v[0:1], 4, v[0:1]
	v_mov_b32_e32 v3, v5
	v_mov_b32_e32 v6, s19
	v_lshlrev_b64 v[2:3], 4, v[2:3]
	v_add_co_u32_e32 v0, vcc, s18, v0
	v_addc_co_u32_e32 v1, vcc, v6, v1, vcc
	v_add_co_u32_e32 v0, vcc, v0, v2
	s_mul_i32 s0, s9, 0x370
	s_mul_hi_u32 s1, s8, 0x370
	v_addc_co_u32_e32 v1, vcc, v1, v3, vcc
	s_add_i32 s0, s1, s0
	s_mul_i32 s1, s8, 0x370
	v_mov_b32_e32 v2, s0
	v_add_co_u32_e32 v8, vcc, s1, v0
	v_addc_co_u32_e32 v9, vcc, v1, v2, vcc
	s_mul_i32 s7, s8, 0xfffffd40
	global_load_dwordx4 v[40:43], v[0:1], off
	v_mov_b32_e32 v0, s6
	v_add_co_u32_e32 v10, vcc, s7, v8
	v_addc_co_u32_e32 v11, vcc, v9, v0, vcc
	global_load_dwordx4 v[44:47], v[8:9], off
	global_load_dwordx4 v[48:51], v[10:11], off
	global_load_dwordx4 v[36:39], v226, s[12:13]
	global_load_dwordx4 v[244:247], v226, s[12:13] offset:176
	v_mov_b32_e32 v0, s0
	v_add_co_u32_e32 v8, vcc, s1, v10
	v_addc_co_u32_e32 v9, vcc, v11, v0, vcc
	v_mov_b32_e32 v0, s6
	v_add_co_u32_e32 v10, vcc, s7, v8
	v_addc_co_u32_e32 v11, vcc, v9, v0, vcc
	;; [unrolled: 3-line block ×3, first 2 shown]
	global_load_dwordx4 v[52:55], v[8:9], off
	global_load_dwordx4 v[56:59], v[10:11], off
	;; [unrolled: 1-line block ×3, first 2 shown]
	global_load_dwordx4 v[20:23], v226, s[12:13] offset:1056
	global_load_dwordx4 v[248:251], v226, s[12:13] offset:1232
	v_mov_b32_e32 v0, s6
	v_add_co_u32_e32 v12, vcc, s7, v12
	v_addc_co_u32_e32 v13, vcc, v13, v0, vcc
	global_load_dwordx4 v[64:67], v[12:13], off
	global_load_dwordx4 v[28:31], v226, s[12:13] offset:352
	global_load_dwordx4 v[1:4], v226, s[12:13] offset:528
	v_mov_b32_e32 v0, s0
	v_add_co_u32_e32 v24, vcc, s1, v12
	v_addc_co_u32_e32 v25, vcc, v13, v0, vcc
	v_mov_b32_e32 v0, s6
	v_add_co_u32_e32 v32, vcc, s7, v24
	v_addc_co_u32_e32 v33, vcc, v25, v0, vcc
	;; [unrolled: 3-line block ×3, first 2 shown]
	global_load_dwordx4 v[68:71], v[24:25], off
	global_load_dwordx4 v[252:255], v226, s[12:13] offset:1408
	global_load_dwordx4 v[72:75], v[32:33], off
	s_nop 0
	global_load_dwordx4 v[24:27], v226, s[12:13] offset:704
	global_load_dwordx4 v[32:35], v226, s[12:13] offset:1584
	global_load_dwordx4 v[76:79], v[80:81], off
	s_mov_b32 s0, 0x38e38e39
	v_mul_hi_u32 v0, v156, s0
	s_load_dwordx4 s[8:11], s[2:3], 0x0
	s_mov_b32 s0, 0x4755a5e
	s_mov_b32 s1, 0x3fe2cf23
	v_lshrrev_b32_e32 v0, 2, v0
	v_mul_lo_u32 v0, v0, 18
	s_mov_b32 s19, 0xbfee6f0e
	s_mov_b32 s18, s16
	;; [unrolled: 1-line block ×3, first 2 shown]
	v_sub_u32_e32 v0, v156, v0
	v_mul_u32_u24_e32 v0, 0x6e, v0
	v_lshlrev_b32_e32 v227, 4, v0
	v_add_u32_e32 v224, v226, v227
	v_lshlrev_b16_e32 v0, 1, v223
	v_lshl_add_u32 v225, v0, 4, v227
	v_lshl_add_u32 v231, v223, 5, v227
	s_mov_b32 s6, s0
	s_mov_b32 s2, 0x372fe950
	;; [unrolled: 1-line block ×3, first 2 shown]
	v_add_co_u32_e32 v157, vcc, s12, v226
	s_waitcnt vmcnt(17)
	v_mul_f64 v[84:85], v[46:47], v[242:243]
	v_mul_f64 v[86:87], v[44:45], v[242:243]
	s_waitcnt vmcnt(15)
	v_mul_f64 v[80:81], v[42:43], v[38:39]
	v_mul_f64 v[82:83], v[40:41], v[38:39]
	v_fma_f64 v[44:45], v[44:45], v[240:241], v[84:85]
	v_fma_f64 v[46:47], v[46:47], v[240:241], -v[86:87]
	v_fma_f64 v[40:41], v[40:41], v[36:37], v[80:81]
	v_fma_f64 v[42:43], v[42:43], v[36:37], -v[82:83]
	s_waitcnt vmcnt(14)
	v_mul_f64 v[80:81], v[50:51], v[246:247]
	ds_write_b128 v224, v[40:43]
	ds_write_b128 v224, v[44:47] offset:880
	v_mul_f64 v[42:43], v[48:49], v[246:247]
	v_fma_f64 v[40:41], v[48:49], v[244:245], v[80:81]
	s_waitcnt vmcnt(10)
	v_mul_f64 v[44:45], v[54:55], v[22:23]
	v_mul_f64 v[46:47], v[52:53], v[22:23]
	s_waitcnt vmcnt(9)
	v_mul_f64 v[86:87], v[62:63], v[250:251]
	s_waitcnt vmcnt(7)
	v_mul_f64 v[82:83], v[58:59], v[30:31]
	v_mul_f64 v[84:85], v[56:57], v[30:31]
	;; [unrolled: 1-line block ×3, first 2 shown]
	v_fma_f64 v[42:43], v[50:51], v[244:245], -v[42:43]
	v_fma_f64 v[44:45], v[52:53], v[20:21], v[44:45]
	v_fma_f64 v[46:47], v[54:55], v[20:21], -v[46:47]
	v_fma_f64 v[52:53], v[60:61], v[248:249], v[86:87]
	v_fma_f64 v[48:49], v[56:57], v[28:29], v[82:83]
	s_waitcnt vmcnt(6)
	v_mul_f64 v[56:57], v[66:67], v[3:4]
	v_fma_f64 v[50:51], v[58:59], v[28:29], -v[84:85]
	v_mul_f64 v[58:59], v[64:65], v[3:4]
	v_fma_f64 v[54:55], v[62:63], v[248:249], -v[88:89]
	v_fma_f64 v[56:57], v[64:65], v[1:2], v[56:57]
	buffer_store_dword v1, off, s[44:47], 0 ; 4-byte Folded Spill
	s_nop 0
	buffer_store_dword v2, off, s[44:47], 0 offset:4 ; 4-byte Folded Spill
	buffer_store_dword v3, off, s[44:47], 0 offset:8 ; 4-byte Folded Spill
	buffer_store_dword v4, off, s[44:47], 0 offset:12 ; 4-byte Folded Spill
	s_waitcnt vmcnt(8)
	v_mul_f64 v[60:61], v[70:71], v[254:255]
	v_mul_f64 v[62:63], v[68:69], v[254:255]
	s_waitcnt vmcnt(6)
	v_mul_f64 v[80:81], v[74:75], v[26:27]
	v_mul_f64 v[82:83], v[72:73], v[26:27]
	;; [unrolled: 3-line block ×3, first 2 shown]
	v_fma_f64 v[60:61], v[68:69], v[252:253], v[60:61]
	v_fma_f64 v[62:63], v[70:71], v[252:253], -v[62:63]
	v_fma_f64 v[64:65], v[72:73], v[24:25], v[80:81]
	v_add_u32_e32 v72, 11, v223
	v_fma_f64 v[68:69], v[76:77], v[32:33], v[84:85]
	v_fma_f64 v[70:71], v[78:79], v[32:33], -v[86:87]
	v_lshl_add_u32 v228, v72, 5, v227
	v_fma_f64 v[58:59], v[66:67], v[1:2], -v[58:59]
	v_fma_f64 v[66:67], v[74:75], v[24:25], -v[82:83]
	ds_write_b128 v224, v[40:43] offset:176
	ds_write_b128 v224, v[44:47] offset:1056
	;; [unrolled: 1-line block ×8, first 2 shown]
	s_waitcnt vmcnt(0) lgkmcnt(0)
	s_barrier
	ds_read_b128 v[40:43], v224 offset:880
	ds_read_b128 v[44:47], v224
	ds_read_b128 v[48:51], v224 offset:176
	ds_read_b128 v[52:55], v224 offset:704
	ds_read_b128 v[56:59], v224 offset:1056
	ds_read_b128 v[60:63], v224 offset:1232
	ds_read_b128 v[64:67], v224 offset:352
	ds_read_b128 v[68:71], v224 offset:528
	ds_read_b128 v[73:76], v224 offset:1408
	ds_read_b128 v[77:80], v224 offset:1584
	s_waitcnt lgkmcnt(0)
	v_add_f64 v[60:61], v[64:65], -v[60:61]
	v_add_f64 v[40:41], v[44:45], -v[40:41]
	;; [unrolled: 1-line block ×10, first 2 shown]
	v_fma_f64 v[44:45], v[44:45], 2.0, -v[40:41]
	v_fma_f64 v[46:47], v[46:47], 2.0, -v[42:43]
	;; [unrolled: 1-line block ×10, first 2 shown]
	s_barrier
	ds_write_b128 v225, v[44:47]
	ds_write_b128 v225, v[40:43] offset:16
	ds_write_b128 v228, v[48:51]
	ds_write_b128 v228, v[56:59] offset:16
	ds_write_b128 v231, v[64:67] offset:704
	;; [unrolled: 1-line block ×7, first 2 shown]
	v_and_b32_e32 v73, 1, v223
	v_lshlrev_b32_e32 v0, 6, v73
	s_waitcnt lgkmcnt(0)
	s_barrier
	global_load_dwordx4 v[56:59], v0, s[14:15]
	global_load_dwordx4 v[52:55], v0, s[14:15] offset:16
	global_load_dwordx4 v[48:51], v0, s[14:15] offset:32
	;; [unrolled: 1-line block ×3, first 2 shown]
	v_and_b32_e32 v74, 1, v72
	v_lshlrev_b32_e32 v0, 6, v74
	global_load_dwordx4 v[68:71], v0, s[14:15]
	global_load_dwordx4 v[64:67], v0, s[14:15] offset:16
	global_load_dwordx4 v[60:63], v0, s[14:15] offset:32
	;; [unrolled: 1-line block ×3, first 2 shown]
	ds_read_b128 v[75:78], v224 offset:352
	ds_read_b128 v[79:82], v224 offset:704
	ds_read_b128 v[83:86], v224 offset:1056
	ds_read_b128 v[87:90], v224 offset:528
	ds_read_b128 v[99:102], v224 offset:1408
	ds_read_b128 v[91:94], v224 offset:880
	ds_read_b128 v[95:98], v224 offset:1232
	v_mov_b32_e32 v0, s13
	v_addc_co_u32_e32 v158, vcc, 0, v0, vcc
	v_lshrrev_b32_e32 v0, 1, v223
	v_lshrrev_b32_e32 v1, 1, v72
	v_mul_u32_u24_e32 v0, 10, v0
	v_mul_u32_u24_e32 v1, 10, v1
	v_or_b32_e32 v0, v0, v73
	v_or_b32_e32 v1, v1, v74
	v_lshl_add_u32 v230, v0, 4, v227
	v_lshl_add_u32 v229, v1, 4, v227
	v_cmp_gt_u16_e32 vcc, 10, v223
	s_waitcnt vmcnt(7) lgkmcnt(6)
	v_mul_f64 v[103:104], v[77:78], v[58:59]
	v_mul_f64 v[105:106], v[75:76], v[58:59]
	s_waitcnt vmcnt(6) lgkmcnt(5)
	v_mul_f64 v[107:108], v[81:82], v[54:55]
	v_mul_f64 v[109:110], v[79:80], v[54:55]
	s_waitcnt vmcnt(5) lgkmcnt(4)
	v_mul_f64 v[111:112], v[85:86], v[50:51]
	v_mul_f64 v[113:114], v[83:84], v[50:51]
	s_waitcnt vmcnt(1) lgkmcnt(0)
	v_mul_f64 v[117:118], v[95:96], v[62:63]
	v_fma_f64 v[103:104], v[75:76], v[56:57], -v[103:104]
	v_fma_f64 v[105:106], v[77:78], v[56:57], v[105:106]
	ds_read_b128 v[75:78], v224 offset:1584
	v_fma_f64 v[107:108], v[79:80], v[52:53], -v[107:108]
	v_fma_f64 v[109:110], v[81:82], v[52:53], v[109:110]
	v_mul_f64 v[79:80], v[99:100], v[46:47]
	v_mul_f64 v[81:82], v[89:90], v[70:71]
	v_mul_f64 v[115:116], v[101:102], v[46:47]
	v_fma_f64 v[83:84], v[83:84], v[48:49], -v[111:112]
	v_fma_f64 v[85:86], v[85:86], v[48:49], v[113:114]
	v_mul_f64 v[111:112], v[87:88], v[70:71]
	v_mul_f64 v[113:114], v[93:94], v[66:67]
	v_add_f64 v[119:120], v[105:106], -v[109:110]
	v_fma_f64 v[101:102], v[101:102], v[44:45], v[79:80]
	v_mul_f64 v[79:80], v[97:98], v[62:63]
	v_fma_f64 v[87:88], v[87:88], v[68:69], -v[81:82]
	s_waitcnt vmcnt(0) lgkmcnt(0)
	v_mul_f64 v[81:82], v[77:78], v[42:43]
	v_fma_f64 v[99:100], v[99:100], v[44:45], -v[115:116]
	v_mul_f64 v[115:116], v[91:92], v[66:67]
	v_fma_f64 v[89:90], v[89:90], v[68:69], v[111:112]
	v_fma_f64 v[91:92], v[91:92], v[64:65], -v[113:114]
	v_mul_f64 v[111:112], v[75:76], v[42:43]
	v_add_f64 v[113:114], v[107:108], v[83:84]
	v_fma_f64 v[95:96], v[95:96], v[60:61], -v[79:80]
	v_fma_f64 v[136:137], v[75:76], v[40:41], -v[81:82]
	ds_read_b128 v[79:82], v224
	v_add_f64 v[124:125], v[105:106], -v[101:102]
	v_fma_f64 v[93:94], v[93:94], v[64:65], v[115:116]
	v_fma_f64 v[97:98], v[97:98], v[60:61], v[117:118]
	;; [unrolled: 1-line block ×3, first 2 shown]
	ds_read_b128 v[75:78], v224 offset:176
	v_add_f64 v[111:112], v[109:110], v[85:86]
	s_waitcnt lgkmcnt(1)
	v_fma_f64 v[113:114], v[113:114], -0.5, v[79:80]
	v_add_f64 v[115:116], v[103:104], -v[107:108]
	v_add_f64 v[117:118], v[99:100], -v[83:84]
	;; [unrolled: 1-line block ×6, first 2 shown]
	v_fma_f64 v[111:112], v[111:112], -0.5, v[81:82]
	v_fma_f64 v[128:129], v[124:125], s[16:17], v[113:114]
	v_fma_f64 v[113:114], v[124:125], s[18:19], v[113:114]
	v_add_f64 v[116:117], v[115:116], v[117:118]
	v_add_f64 v[118:119], v[119:120], v[121:122]
	;; [unrolled: 1-line block ×5, first 2 shown]
	v_fma_f64 v[120:121], v[126:127], s[18:19], v[111:112]
	v_fma_f64 v[122:123], v[130:131], s[0:1], v[128:129]
	v_add_f64 v[128:129], v[79:80], v[103:104]
	v_fma_f64 v[111:112], v[126:127], s[16:17], v[111:112]
	v_fma_f64 v[142:143], v[130:131], s[6:7], v[113:114]
	v_add_f64 v[134:135], v[134:135], v[109:110]
	v_fma_f64 v[79:80], v[140:141], -0.5, v[79:80]
	v_fma_f64 v[81:82], v[146:147], -0.5, v[81:82]
	v_fma_f64 v[120:121], v[132:133], s[6:7], v[120:121]
	v_add_f64 v[103:104], v[107:108], -v[103:104]
	v_add_f64 v[128:129], v[128:129], v[107:108]
	v_fma_f64 v[144:145], v[132:133], s[0:1], v[111:112]
	v_fma_f64 v[112:113], v[116:117], s[2:3], v[122:123]
	v_add_f64 v[148:149], v[91:92], -v[95:96]
	v_fma_f64 v[107:108], v[130:131], s[18:19], v[79:80]
	v_fma_f64 v[79:80], v[130:131], s[16:17], v[79:80]
	;; [unrolled: 1-line block ×4, first 2 shown]
	v_add_f64 v[116:117], v[128:129], v[83:84]
	v_add_f64 v[128:129], v[134:135], v[85:86]
	v_fma_f64 v[122:123], v[118:119], s[2:3], v[144:145]
	v_add_f64 v[83:84], v[83:84], -v[99:100]
	v_add_f64 v[85:86], v[85:86], -v[101:102]
	v_fma_f64 v[107:108], v[124:125], s[0:1], v[107:108]
	v_fma_f64 v[79:80], v[124:125], s[6:7], v[79:80]
	v_add_f64 v[142:143], v[93:94], -v[97:98]
	v_add_f64 v[116:117], v[116:117], v[99:100]
	v_add_f64 v[118:119], v[128:129], v[101:102]
	v_add_f64 v[99:100], v[109:110], -v[105:106]
	v_fma_f64 v[101:102], v[132:133], s[16:17], v[81:82]
	v_add_f64 v[105:106], v[91:92], v[95:96]
	v_fma_f64 v[81:82], v[132:133], s[18:19], v[81:82]
	v_add_f64 v[83:84], v[103:104], v[83:84]
	v_add_f64 v[103:104], v[93:94], v[97:98]
	v_add_f64 v[109:110], v[87:88], -v[136:137]
	v_add_f64 v[132:133], v[136:137], -v[95:96]
	v_add_f64 v[85:86], v[99:100], v[85:86]
	v_fma_f64 v[99:100], v[126:127], s[6:7], v[101:102]
	s_waitcnt lgkmcnt(0)
	v_fma_f64 v[101:102], v[105:106], -0.5, v[75:76]
	v_add_f64 v[105:106], v[89:90], -v[138:139]
	v_fma_f64 v[81:82], v[126:127], s[0:1], v[81:82]
	v_fma_f64 v[103:104], v[103:104], -0.5, v[77:78]
	v_fma_f64 v[124:125], v[83:84], s[2:3], v[107:108]
	v_add_f64 v[107:108], v[87:88], -v[91:92]
	v_add_f64 v[134:135], v[89:90], -v[93:94]
	;; [unrolled: 1-line block ×3, first 2 shown]
	v_fma_f64 v[128:129], v[83:84], s[2:3], v[79:80]
	v_fma_f64 v[140:141], v[105:106], s[16:17], v[101:102]
	;; [unrolled: 1-line block ×4, first 2 shown]
	v_add_f64 v[83:84], v[87:88], v[136:137]
	v_add_f64 v[79:80], v[107:108], v[132:133]
	;; [unrolled: 1-line block ×3, first 2 shown]
	v_fma_f64 v[126:127], v[85:86], s[2:3], v[99:100]
	v_add_f64 v[85:86], v[134:135], v[144:145]
	v_fma_f64 v[81:82], v[142:143], s[0:1], v[140:141]
	v_fma_f64 v[101:102], v[105:106], s[18:19], v[101:102]
	;; [unrolled: 1-line block ×4, first 2 shown]
	v_add_f64 v[140:141], v[75:76], v[87:88]
	v_fma_f64 v[75:76], v[83:84], -0.5, v[75:76]
	v_add_f64 v[87:88], v[91:92], -v[87:88]
	v_fma_f64 v[132:133], v[79:80], s[2:3], v[81:82]
	v_add_f64 v[81:82], v[77:78], v[89:90]
	v_fma_f64 v[77:78], v[107:108], -0.5, v[77:78]
	v_fma_f64 v[134:135], v[85:86], s[2:3], v[99:100]
	v_fma_f64 v[83:84], v[142:143], s[6:7], v[101:102]
	;; [unrolled: 1-line block ×3, first 2 shown]
	v_add_f64 v[101:102], v[140:141], v[91:92]
	v_fma_f64 v[91:92], v[142:143], s[18:19], v[75:76]
	v_add_f64 v[103:104], v[95:96], -v[136:137]
	v_add_f64 v[81:82], v[81:82], v[93:94]
	v_add_f64 v[89:90], v[93:94], -v[89:90]
	v_add_f64 v[93:94], v[97:98], -v[138:139]
	v_fma_f64 v[107:108], v[148:149], s[16:17], v[77:78]
	v_fma_f64 v[75:76], v[142:143], s[16:17], v[75:76]
	;; [unrolled: 1-line block ×3, first 2 shown]
	v_add_f64 v[95:96], v[101:102], v[95:96]
	v_add_f64 v[87:88], v[87:88], v[103:104]
	;; [unrolled: 1-line block ×3, first 2 shown]
	v_fma_f64 v[91:92], v[105:106], s[0:1], v[91:92]
	v_add_f64 v[89:90], v[89:90], v[93:94]
	v_fma_f64 v[93:94], v[109:110], s[6:7], v[107:108]
	v_fma_f64 v[75:76], v[105:106], s[6:7], v[75:76]
	;; [unrolled: 1-line block ×5, first 2 shown]
	v_add_f64 v[136:137], v[95:96], v[136:137]
	v_add_f64 v[138:139], v[81:82], v[138:139]
	v_fma_f64 v[140:141], v[87:88], s[2:3], v[91:92]
	v_fma_f64 v[142:143], v[89:90], s[2:3], v[93:94]
	;; [unrolled: 1-line block ×4, first 2 shown]
	s_load_dwordx2 s[2:3], s[4:5], 0x38
	s_waitcnt lgkmcnt(0)
	s_barrier
	ds_write_b128 v230, v[116:119]
	ds_write_b128 v230, v[112:115] offset:32
	ds_write_b128 v230, v[124:127] offset:64
	ds_write_b128 v230, v[128:131] offset:96
	ds_write_b128 v230, v[120:123] offset:128
	ds_write_b128 v229, v[136:139]
	ds_write_b128 v229, v[132:135] offset:32
	ds_write_b128 v229, v[140:143] offset:64
	;; [unrolled: 1-line block ×4, first 2 shown]
	s_waitcnt lgkmcnt(0)
	s_barrier
	s_and_saveexec_b64 s[0:1], vcc
	s_cbranch_execz .LBB0_3
; %bb.2:
	ds_read_b128 v[116:119], v224
	ds_read_b128 v[112:115], v224 offset:160
	ds_read_b128 v[124:127], v224 offset:320
	;; [unrolled: 1-line block ×10, first 2 shown]
.LBB0_3:
	s_or_b64 exec, exec, s[0:1]
	v_add_u32_e32 v0, -10, v223
	v_cndmask_b32_e32 v0, v0, v223, vcc
	v_mul_hi_i32_i24_e32 v1, 0xa0, v0
	v_mul_i32_i24_e32 v0, 0xa0, v0
	v_mov_b32_e32 v2, s15
	v_add_co_u32_e64 v92, s[0:1], s14, v0
	v_addc_co_u32_e64 v93, s[0:1], v2, v1, s[0:1]
	global_load_dwordx4 v[76:79], v[92:93], off offset:128
	global_load_dwordx4 v[72:75], v[92:93], off offset:144
	global_load_dwordx4 v[80:83], v[92:93], off offset:160
	global_load_dwordx4 v[84:87], v[92:93], off offset:176
	global_load_dwordx4 v[108:111], v[92:93], off offset:192
	global_load_dwordx4 v[104:107], v[92:93], off offset:208
	global_load_dwordx4 v[100:103], v[92:93], off offset:224
	global_load_dwordx4 v[96:99], v[92:93], off offset:240
	global_load_dwordx4 v[88:91], v[92:93], off offset:256
	s_nop 0
	global_load_dwordx4 v[92:95], v[92:93], off offset:272
	s_mov_b32 s24, 0xf8bb580b
	s_mov_b32 s25, 0xbfe14ced
	;; [unrolled: 1-line block ×20, first 2 shown]
	s_waitcnt vmcnt(9) lgkmcnt(9)
	v_mul_f64 v[159:160], v[114:115], v[78:79]
	v_mul_f64 v[161:162], v[112:113], v[78:79]
	s_waitcnt vmcnt(8) lgkmcnt(8)
	v_mul_f64 v[163:164], v[126:127], v[74:75]
	v_mul_f64 v[165:166], v[124:125], v[74:75]
	;; [unrolled: 3-line block ×3, first 2 shown]
	v_mul_f64 v[167:168], v[130:131], v[82:83]
	v_mul_f64 v[169:170], v[128:129], v[82:83]
	s_waitcnt vmcnt(1) lgkmcnt(1)
	v_mul_f64 v[199:200], v[150:151], v[90:91]
	s_waitcnt vmcnt(0) lgkmcnt(0)
	v_mul_f64 v[203:204], v[154:155], v[94:95]
	v_mul_f64 v[205:206], v[152:153], v[94:95]
	;; [unrolled: 1-line block ×3, first 2 shown]
	v_fma_f64 v[181:182], v[112:113], v[76:77], -v[159:160]
	v_fma_f64 v[191:192], v[114:115], v[76:77], v[161:162]
	v_fma_f64 v[171:172], v[124:125], v[72:73], -v[163:164]
	v_fma_f64 v[173:174], v[126:127], v[72:73], v[165:166]
	;; [unrolled: 2-line block ×4, first 2 shown]
	v_mul_f64 v[179:180], v[138:139], v[110:111]
	v_mul_f64 v[185:186], v[134:135], v[106:107]
	;; [unrolled: 1-line block ×4, first 2 shown]
	v_fma_f64 v[124:125], v[148:149], v[88:89], -v[199:200]
	v_fma_f64 v[126:127], v[150:151], v[88:89], v[201:202]
	v_add_f64 v[201:202], v[181:182], -v[120:121]
	v_add_f64 v[211:212], v[191:192], -v[122:123]
	v_mul_f64 v[183:184], v[136:137], v[110:111]
	v_mul_f64 v[187:188], v[132:133], v[106:107]
	;; [unrolled: 1-line block ×4, first 2 shown]
	v_fma_f64 v[167:168], v[128:129], v[80:81], -v[167:168]
	v_fma_f64 v[169:170], v[130:131], v[80:81], v[169:170]
	v_fma_f64 v[159:160], v[136:137], v[108:109], -v[179:180]
	v_fma_f64 v[136:137], v[132:133], v[104:105], -v[185:186]
	;; [unrolled: 1-line block ×3, first 2 shown]
	v_fma_f64 v[130:131], v[146:147], v[96:97], v[197:198]
	v_add_f64 v[144:145], v[181:182], v[120:121]
	v_add_f64 v[217:218], v[191:192], v[122:123]
	v_add_f64 v[199:200], v[171:172], -v[124:125]
	v_add_f64 v[209:210], v[173:174], -v[126:127]
	v_mul_f64 v[175:176], v[211:212], s[24:25]
	v_mul_f64 v[185:186], v[201:202], s[24:25]
	v_fma_f64 v[161:162], v[138:139], v[108:109], v[183:184]
	v_fma_f64 v[138:139], v[134:135], v[104:105], v[187:188]
	v_fma_f64 v[132:133], v[140:141], v[100:101], -v[189:190]
	v_fma_f64 v[134:135], v[142:143], v[100:101], v[193:194]
	v_add_f64 v[146:147], v[171:172], v[124:125]
	v_add_f64 v[215:216], v[173:174], v[126:127]
	v_add_f64 v[193:194], v[167:168], -v[128:129]
	v_add_f64 v[203:204], v[169:170], -v[130:131]
	v_mul_f64 v[154:155], v[209:210], s[14:15]
	v_mul_f64 v[183:184], v[199:200], s[14:15]
	v_fma_f64 v[112:113], v[144:145], s[0:1], v[175:176]
	v_fma_f64 v[114:115], v[217:218], s[0:1], -v[185:186]
	v_add_f64 v[142:143], v[167:168], v[128:129]
	v_add_f64 v[213:214], v[169:170], v[130:131]
	v_add_f64 v[195:196], v[163:164], -v[132:133]
	v_add_f64 v[205:206], v[165:166], -v[134:135]
	v_mul_f64 v[150:151], v[203:204], s[26:27]
	v_mul_f64 v[177:178], v[193:194], s[26:27]
	v_fma_f64 v[148:149], v[146:147], s[4:5], v[154:155]
	v_fma_f64 v[187:188], v[215:216], s[4:5], -v[183:184]
	v_add_f64 v[112:113], v[116:117], v[112:113]
	v_add_f64 v[114:115], v[118:119], v[114:115]
	;; [unrolled: 1-line block ×4, first 2 shown]
	v_add_f64 v[197:198], v[159:160], -v[136:137]
	v_add_f64 v[207:208], v[161:162], -v[138:139]
	v_mul_f64 v[152:153], v[205:206], s[20:21]
	v_mul_f64 v[179:180], v[195:196], s[20:21]
	v_fma_f64 v[232:233], v[142:143], s[6:7], v[150:151]
	v_fma_f64 v[234:235], v[213:214], s[6:7], -v[177:178]
	v_add_f64 v[112:113], v[148:149], v[112:113]
	v_add_f64 v[114:115], v[187:188], v[114:115]
	;; [unrolled: 1-line block ×4, first 2 shown]
	v_mul_f64 v[187:188], v[207:208], s[22:23]
	v_mul_f64 v[189:190], v[197:198], s[22:23]
	v_fma_f64 v[236:237], v[140:141], s[16:17], v[152:153]
	v_fma_f64 v[238:239], v[219:220], s[16:17], -v[179:180]
	v_add_f64 v[112:113], v[232:233], v[112:113]
	v_add_f64 v[114:115], v[234:235], v[114:115]
	v_fma_f64 v[232:233], v[148:149], s[28:29], v[187:188]
	v_fma_f64 v[234:235], v[221:222], s[28:29], -v[189:190]
	v_add_f64 v[112:113], v[236:237], v[112:113]
	v_add_f64 v[114:115], v[238:239], v[114:115]
	;; [unrolled: 1-line block ×4, first 2 shown]
	v_add_u32_e32 v232, 0x2c0, v231
	v_add_u32_e32 v233, 0x420, v231
	;; [unrolled: 1-line block ×3, first 2 shown]
	s_and_saveexec_b64 s[18:19], vcc
	s_cbranch_execz .LBB0_5
; %bb.4:
	v_mul_f64 v[0:1], v[144:145], s[0:1]
	v_mul_f64 v[234:235], v[217:218], s[28:29]
	s_mov_b32 s35, 0x3fd207e7
	s_mov_b32 s34, s22
	v_mul_f64 v[238:239], v[215:216], s[0:1]
	s_mov_b32 s37, 0x3fe14ced
	s_mov_b32 s36, s24
	;; [unrolled: 1-line block ×3, first 2 shown]
	buffer_store_dword v0, off, s[44:47], 0 offset:120 ; 4-byte Folded Spill
	s_nop 0
	buffer_store_dword v1, off, s[44:47], 0 offset:124 ; 4-byte Folded Spill
	v_mul_f64 v[0:1], v[217:218], s[0:1]
	s_mov_b32 s38, s20
	s_mov_b32 s41, 0x3fed1bb4
	s_mov_b32 s40, s14
	v_mul_f64 v[236:237], v[219:220], s[4:5]
	v_mul_f64 v[6:7], v[207:208], s[26:27]
	s_mov_b32 s31, 0x3fefac9e
	s_mov_b32 s30, s26
	buffer_store_dword v0, off, s[44:47], 0 offset:144 ; 4-byte Folded Spill
	s_nop 0
	buffer_store_dword v1, off, s[44:47], 0 offset:148 ; 4-byte Folded Spill
	v_mul_f64 v[0:1], v[146:147], s[4:5]
	v_mul_f64 v[8:9], v[203:204], s[24:25]
	v_add_f64 v[191:192], v[118:119], v[191:192]
	v_add_f64 v[181:182], v[116:117], v[181:182]
	buffer_store_dword v0, off, s[44:47], 0 offset:104 ; 4-byte Folded Spill
	s_nop 0
	buffer_store_dword v1, off, s[44:47], 0 offset:108 ; 4-byte Folded Spill
	v_mul_f64 v[0:1], v[215:216], s[4:5]
	v_fma_f64 v[16:17], v[142:143], s[0:1], v[8:9]
	v_fma_f64 v[8:9], v[142:143], s[0:1], -v[8:9]
	v_add_f64 v[173:174], v[191:192], v[173:174]
	v_add_f64 v[171:172], v[181:182], v[171:172]
	v_mul_f64 v[181:182], v[203:204], s[34:35]
	buffer_store_dword v0, off, s[44:47], 0 offset:128 ; 4-byte Folded Spill
	s_nop 0
	buffer_store_dword v1, off, s[44:47], 0 offset:132 ; 4-byte Folded Spill
	v_mul_f64 v[0:1], v[142:143], s[6:7]
	buffer_store_dword v0, off, s[44:47], 0 offset:88 ; 4-byte Folded Spill
	s_nop 0
	buffer_store_dword v1, off, s[44:47], 0 offset:92 ; 4-byte Folded Spill
	v_mul_f64 v[0:1], v[213:214], s[6:7]
	v_add_f64 v[169:170], v[173:174], v[169:170]
	v_add_f64 v[167:168], v[171:172], v[167:168]
	v_fma_f64 v[171:172], v[142:143], s[28:29], v[181:182]
	buffer_store_dword v0, off, s[44:47], 0 offset:96 ; 4-byte Folded Spill
	s_nop 0
	buffer_store_dword v1, off, s[44:47], 0 offset:100 ; 4-byte Folded Spill
	v_mul_f64 v[0:1], v[140:141], s[16:17]
	v_add_f64 v[165:166], v[169:170], v[165:166]
	v_add_f64 v[163:164], v[167:168], v[163:164]
	v_mul_f64 v[167:168], v[207:208], s[36:37]
	buffer_store_dword v0, off, s[44:47], 0 offset:136 ; 4-byte Folded Spill
	s_nop 0
	buffer_store_dword v1, off, s[44:47], 0 offset:140 ; 4-byte Folded Spill
	buffer_store_dword v248, off, s[44:47], 0 offset:48 ; 4-byte Folded Spill
	s_nop 0
	buffer_store_dword v249, off, s[44:47], 0 offset:52 ; 4-byte Folded Spill
	buffer_store_dword v250, off, s[44:47], 0 offset:56 ; 4-byte Folded Spill
	;; [unrolled: 1-line block ×3, first 2 shown]
	v_mul_f64 v[0:1], v[219:220], s[16:17]
	v_mul_f64 v[248:249], v[211:212], s[22:23]
	v_mov_b32_e32 v251, v231
	v_mov_b32_e32 v250, v233
	;; [unrolled: 1-line block ×3, first 2 shown]
	v_mul_f64 v[231:232], v[209:210], s[36:37]
	v_add_f64 v[161:162], v[165:166], v[161:162]
	v_add_f64 v[159:160], v[163:164], v[159:160]
	buffer_store_dword v0, off, s[44:47], 0 offset:152 ; 4-byte Folded Spill
	s_nop 0
	buffer_store_dword v1, off, s[44:47], 0 offset:156 ; 4-byte Folded Spill
	v_mul_f64 v[0:1], v[148:149], s[28:29]
	buffer_store_dword v0, off, s[44:47], 0 offset:112 ; 4-byte Folded Spill
	s_nop 0
	buffer_store_dword v1, off, s[44:47], 0 offset:116 ; 4-byte Folded Spill
	buffer_store_dword v240, off, s[44:47], 0 offset:16 ; 4-byte Folded Spill
	s_nop 0
	buffer_store_dword v241, off, s[44:47], 0 offset:20 ; 4-byte Folded Spill
	buffer_store_dword v242, off, s[44:47], 0 offset:24 ; 4-byte Folded Spill
	;; [unrolled: 1-line block ×3, first 2 shown]
	v_fma_f64 v[240:241], v[201:202], s[34:35], v[234:235]
	buffer_store_dword v244, off, s[44:47], 0 offset:32 ; 4-byte Folded Spill
	s_nop 0
	buffer_store_dword v245, off, s[44:47], 0 offset:36 ; 4-byte Folded Spill
	buffer_store_dword v246, off, s[44:47], 0 offset:40 ; 4-byte Folded Spill
	buffer_store_dword v247, off, s[44:47], 0 offset:44 ; 4-byte Folded Spill
	buffer_store_dword v252, off, s[44:47], 0 offset:64 ; 4-byte Folded Spill
	s_nop 0
	buffer_store_dword v253, off, s[44:47], 0 offset:68 ; 4-byte Folded Spill
	buffer_store_dword v254, off, s[44:47], 0 offset:72 ; 4-byte Folded Spill
	;; [unrolled: 1-line block ×3, first 2 shown]
	v_fma_f64 v[252:253], v[199:200], s[24:25], v[238:239]
	v_fma_f64 v[254:255], v[144:145], s[28:29], v[248:249]
	v_mul_f64 v[246:247], v[213:214], s[16:17]
	v_fma_f64 v[234:235], v[201:202], s[22:23], v[234:235]
	v_fma_f64 v[248:249], v[144:145], s[28:29], -v[248:249]
	v_add_f64 v[240:241], v[118:119], v[240:241]
	v_fma_f64 v[0:1], v[146:147], s[0:1], v[231:232]
	buffer_store_dword v225, off, s[44:47], 0 offset:80 ; 4-byte Folded Spill
	buffer_store_dword v227, off, s[44:47], 0 offset:84 ; 4-byte Folded Spill
	v_mov_b32_e32 v225, v223
	v_add_f64 v[2:3], v[116:117], v[254:255]
	v_mov_b32_e32 v223, v228
	v_fma_f64 v[227:228], v[193:194], s[38:39], v[246:247]
	v_mul_f64 v[254:255], v[205:206], s[40:41]
	v_add_f64 v[240:241], v[252:253], v[240:241]
	v_mul_f64 v[252:253], v[203:204], s[20:21]
	v_fma_f64 v[238:239], v[199:200], s[36:37], v[238:239]
	v_add_f64 v[234:235], v[118:119], v[234:235]
	v_fma_f64 v[231:232], v[146:147], s[0:1], -v[231:232]
	v_add_f64 v[248:249], v[116:117], v[248:249]
	v_add_f64 v[0:1], v[0:1], v[2:3]
	v_mul_f64 v[242:243], v[221:222], s[6:7]
	v_fma_f64 v[244:245], v[195:196], s[14:15], v[236:237]
	v_fma_f64 v[4:5], v[142:143], s[16:17], v[252:253]
	v_add_f64 v[2:3], v[227:228], v[240:241]
	v_fma_f64 v[227:228], v[193:194], s[20:21], v[246:247]
	v_add_f64 v[234:235], v[238:239], v[234:235]
	v_fma_f64 v[238:239], v[142:143], s[16:17], -v[252:253]
	v_add_f64 v[231:232], v[231:232], v[248:249]
	v_fma_f64 v[240:241], v[140:141], s[4:5], v[254:255]
	v_fma_f64 v[236:237], v[195:196], s[40:41], v[236:237]
	v_add_f64 v[0:1], v[4:5], v[0:1]
	v_fma_f64 v[4:5], v[197:198], s[30:31], v[242:243]
	v_add_f64 v[2:3], v[244:245], v[2:3]
	v_add_f64 v[227:228], v[227:228], v[234:235]
	v_fma_f64 v[234:235], v[140:141], s[4:5], -v[254:255]
	v_add_f64 v[231:232], v[238:239], v[231:232]
	v_fma_f64 v[238:239], v[148:149], s[6:7], v[6:7]
	v_fma_f64 v[6:7], v[148:149], s[6:7], -v[6:7]
	v_add_f64 v[0:1], v[240:241], v[0:1]
	v_fma_f64 v[240:241], v[197:198], s[26:27], v[242:243]
	v_mul_f64 v[242:243], v[217:218], s[16:17]
	v_add_f64 v[227:228], v[236:237], v[227:228]
	v_add_f64 v[236:237], v[4:5], v[2:3]
	;; [unrolled: 1-line block ×3, first 2 shown]
	v_mul_f64 v[2:3], v[211:212], s[20:21]
	v_mul_f64 v[248:249], v[219:220], s[28:29]
	v_add_f64 v[234:235], v[238:239], v[0:1]
	v_mul_f64 v[0:1], v[215:216], s[6:7]
	v_fma_f64 v[4:5], v[201:202], s[38:39], v[242:243]
	v_fma_f64 v[14:15], v[201:202], s[20:21], v[242:243]
	v_add_f64 v[240:241], v[240:241], v[227:228]
	v_add_f64 v[238:239], v[6:7], v[231:232]
	v_mul_f64 v[6:7], v[213:214], s[0:1]
	v_mul_f64 v[231:232], v[209:210], s[30:31]
	v_fma_f64 v[246:247], v[144:145], s[16:17], v[2:3]
	v_fma_f64 v[244:245], v[199:200], s[26:27], v[0:1]
	v_add_f64 v[4:5], v[118:119], v[4:5]
	v_fma_f64 v[2:3], v[144:145], s[16:17], -v[2:3]
	v_fma_f64 v[0:1], v[199:200], s[30:31], v[0:1]
	v_add_f64 v[14:15], v[118:119], v[14:15]
	v_fma_f64 v[10:11], v[193:194], s[36:37], v[6:7]
	v_fma_f64 v[12:13], v[146:147], s[6:7], v[231:232]
	v_add_f64 v[242:243], v[116:117], v[246:247]
	v_mul_f64 v[227:228], v[221:222], s[4:5]
	v_add_f64 v[4:5], v[244:245], v[4:5]
	v_fma_f64 v[244:245], v[195:196], s[34:35], v[248:249]
	v_mul_f64 v[246:247], v[205:206], s[22:23]
	v_fma_f64 v[231:232], v[146:147], s[6:7], -v[231:232]
	v_add_f64 v[2:3], v[116:117], v[2:3]
	v_fma_f64 v[6:7], v[193:194], s[24:25], v[6:7]
	v_add_f64 v[12:13], v[12:13], v[242:243]
	v_add_f64 v[0:1], v[0:1], v[14:15]
	;; [unrolled: 1-line block ×3, first 2 shown]
	v_fma_f64 v[252:253], v[197:198], s[14:15], v[227:228]
	v_mul_f64 v[10:11], v[207:208], s[40:41]
	v_fma_f64 v[18:19], v[140:141], s[28:29], v[246:247]
	v_add_f64 v[2:3], v[231:232], v[2:3]
	v_fma_f64 v[231:232], v[195:196], s[22:23], v[248:249]
	v_add_f64 v[12:13], v[16:17], v[12:13]
	v_mul_f64 v[16:17], v[217:218], s[6:7]
	v_add_f64 v[4:5], v[244:245], v[4:5]
	v_add_f64 v[0:1], v[6:7], v[0:1]
	v_fma_f64 v[14:15], v[148:149], s[4:5], v[10:11]
	v_fma_f64 v[10:11], v[148:149], s[4:5], -v[10:11]
	v_add_f64 v[2:3], v[8:9], v[2:3]
	v_fma_f64 v[8:9], v[197:198], s[40:41], v[227:228]
	v_add_f64 v[6:7], v[18:19], v[12:13]
	v_fma_f64 v[12:13], v[201:202], s[30:31], v[16:17]
	v_add_f64 v[244:245], v[252:253], v[4:5]
	v_mul_f64 v[4:5], v[215:216], s[28:29]
	v_fma_f64 v[18:19], v[140:141], s[28:29], -v[246:247]
	v_add_f64 v[0:1], v[231:232], v[0:1]
	v_fma_f64 v[16:17], v[201:202], s[26:27], v[16:17]
	v_mul_f64 v[231:232], v[203:204], s[40:41]
	v_add_f64 v[242:243], v[14:15], v[6:7]
	v_mul_f64 v[6:7], v[213:214], s[4:5]
	v_add_f64 v[12:13], v[118:119], v[12:13]
	v_fma_f64 v[14:15], v[199:200], s[22:23], v[4:5]
	v_add_f64 v[2:3], v[18:19], v[2:3]
	v_add_f64 v[248:249], v[8:9], v[0:1]
	v_mul_f64 v[0:1], v[211:212], s[26:27]
	v_mul_f64 v[18:19], v[219:220], s[0:1]
	v_fma_f64 v[4:5], v[199:200], s[34:35], v[4:5]
	v_fma_f64 v[8:9], v[193:194], s[14:15], v[6:7]
	v_add_f64 v[16:17], v[118:119], v[16:17]
	v_add_f64 v[12:13], v[14:15], v[12:13]
	;; [unrolled: 1-line block ×3, first 2 shown]
	v_mul_f64 v[10:11], v[209:210], s[34:35]
	v_fma_f64 v[227:228], v[144:145], s[6:7], v[0:1]
	v_mul_f64 v[14:15], v[221:222], s[16:17]
	v_fma_f64 v[2:3], v[195:196], s[36:37], v[18:19]
	v_fma_f64 v[0:1], v[144:145], s[6:7], -v[0:1]
	v_fma_f64 v[6:7], v[193:194], s[40:41], v[6:7]
	v_add_f64 v[8:9], v[8:9], v[12:13]
	v_add_f64 v[4:5], v[4:5], v[16:17]
	v_fma_f64 v[252:253], v[146:147], s[28:29], v[10:11]
	v_add_f64 v[227:228], v[116:117], v[227:228]
	v_fma_f64 v[12:13], v[197:198], s[38:39], v[14:15]
	v_fma_f64 v[10:11], v[146:147], s[28:29], -v[10:11]
	v_add_f64 v[0:1], v[116:117], v[0:1]
	v_fma_f64 v[16:17], v[142:143], s[4:5], v[231:232]
	v_add_f64 v[2:3], v[2:3], v[8:9]
	v_mul_f64 v[8:9], v[205:206], s[24:25]
	v_fma_f64 v[18:19], v[195:196], s[24:25], v[18:19]
	v_add_f64 v[227:228], v[252:253], v[227:228]
	v_add_f64 v[4:5], v[6:7], v[4:5]
	v_fma_f64 v[14:15], v[197:198], s[20:21], v[14:15]
	v_add_f64 v[0:1], v[10:11], v[0:1]
	v_fma_f64 v[6:7], v[142:143], s[4:5], -v[231:232]
	v_add_f64 v[252:253], v[12:13], v[2:3]
	v_fma_f64 v[10:11], v[140:141], s[0:1], v[8:9]
	v_mul_f64 v[211:212], v[211:212], s[14:15]
	v_add_f64 v[12:13], v[16:17], v[227:228]
	v_add_f64 v[4:5], v[18:19], v[4:5]
	v_mul_f64 v[16:17], v[217:218], s[4:5]
	v_mul_f64 v[254:255], v[221:222], s[28:29]
	v_add_f64 v[0:1], v[6:7], v[0:1]
	v_mul_f64 v[6:7], v[221:222], s[0:1]
	v_mul_f64 v[213:214], v[213:214], s[28:29]
	;; [unrolled: 1-line block ×3, first 2 shown]
	v_add_f64 v[10:11], v[10:11], v[12:13]
	v_mul_f64 v[12:13], v[215:216], s[16:17]
	v_add_f64 v[215:216], v[14:15], v[4:5]
	v_fma_f64 v[4:5], v[201:202], s[40:41], v[16:17]
	v_fma_f64 v[16:17], v[201:202], s[14:15], v[16:17]
	v_fma_f64 v[221:222], v[144:145], s[4:5], v[211:212]
	v_mul_f64 v[14:15], v[219:220], s[6:7]
	v_fma_f64 v[201:202], v[193:194], s[22:23], v[213:214]
	v_fma_f64 v[191:192], v[146:147], s[16:17], v[209:210]
	;; [unrolled: 1-line block ×5, first 2 shown]
	v_add_f64 v[16:17], v[118:119], v[16:17]
	v_add_f64 v[199:200], v[116:117], v[221:222]
	v_fma_f64 v[219:220], v[195:196], s[26:27], v[14:15]
	v_fma_f64 v[14:15], v[195:196], s[30:31], v[14:15]
	v_mov_b32_e32 v228, v223
	v_mov_b32_e32 v223, v225
	buffer_load_dword v227, off, s[44:47], 0 offset:84 ; 4-byte Folded Reload
	buffer_load_dword v225, off, s[44:47], 0 offset:80 ; 4-byte Folded Reload
	v_fma_f64 v[144:145], v[144:145], s[4:5], -v[211:212]
	v_add_f64 v[12:13], v[12:13], v[16:17]
	v_add_f64 v[173:174], v[191:192], v[199:200]
	;; [unrolled: 1-line block ×5, first 2 shown]
	v_fma_f64 v[146:147], v[146:147], s[16:17], -v[209:210]
	v_mul_f64 v[16:17], v[205:206], s[30:31]
	v_fma_f64 v[142:143], v[142:143], s[28:29], -v[181:182]
	v_add_f64 v[12:13], v[193:194], v[12:13]
	v_add_f64 v[171:172], v[171:172], v[173:174]
	buffer_load_dword v173, off, s[44:47], 0 offset:144 ; 4-byte Folded Reload
	buffer_load_dword v174, off, s[44:47], 0 offset:148 ; 4-byte Folded Reload
	v_add_f64 v[134:135], v[138:139], v[134:135]
	v_add_f64 v[132:133], v[136:137], v[132:133]
	v_mul_f64 v[2:3], v[207:208], s[20:21]
	v_fma_f64 v[8:9], v[140:141], s[0:1], -v[8:9]
	v_fma_f64 v[169:170], v[140:141], s[6:7], v[16:17]
	v_add_f64 v[12:13], v[14:15], v[12:13]
	buffer_load_dword v14, off, s[44:47], 0 offset:120 ; 4-byte Folded Reload
	buffer_load_dword v15, off, s[44:47], 0 offset:124 ; 4-byte Folded Reload
	;; [unrolled: 1-line block ×6, first 2 shown]
	v_add_f64 v[128:129], v[132:133], v[128:129]
	v_add_f64 v[130:131], v[134:135], v[130:131]
	v_fma_f64 v[16:17], v[140:141], s[6:7], -v[16:17]
	v_fma_f64 v[18:19], v[148:149], s[16:17], v[2:3]
	v_add_f64 v[0:1], v[8:9], v[0:1]
	v_fma_f64 v[8:9], v[197:198], s[24:25], v[6:7]
	v_fma_f64 v[6:7], v[197:198], s[36:37], v[6:7]
	v_fma_f64 v[134:135], v[148:149], s[0:1], -v[167:168]
	v_add_f64 v[124:125], v[128:129], v[124:125]
	v_add_f64 v[126:127], v[130:131], v[126:127]
	v_fma_f64 v[2:3], v[148:149], s[16:17], -v[2:3]
	v_mov_b32_e32 v232, v233
	v_mov_b32_e32 v233, v250
	v_mov_b32_e32 v231, v251
	v_add_f64 v[250:251], v[18:19], v[10:11]
	v_add_f64 v[4:5], v[217:218], v[4:5]
	;; [unrolled: 1-line block ×9, first 2 shown]
	s_waitcnt vmcnt(9)
	v_lshl_add_u32 v0, v223, 4, v227
	s_waitcnt vmcnt(6)
	v_add_f64 v[173:174], v[185:186], v[173:174]
	s_waitcnt vmcnt(4)
	v_add_f64 v[14:15], v[14:15], -v[175:176]
	s_waitcnt vmcnt(2)
	v_add_f64 v[163:164], v[183:184], v[163:164]
	v_add_f64 v[118:119], v[118:119], v[173:174]
	s_waitcnt vmcnt(0)
	v_add_f64 v[154:155], v[159:160], -v[154:155]
	v_add_f64 v[14:15], v[116:117], v[14:15]
	v_add_f64 v[116:117], v[116:117], v[144:145]
	buffer_load_dword v144, off, s[44:47], 0 offset:96 ; 4-byte Folded Reload
	buffer_load_dword v145, off, s[44:47], 0 offset:100 ; 4-byte Folded Reload
	;; [unrolled: 1-line block ×6, first 2 shown]
	v_add_f64 v[118:119], v[163:164], v[118:119]
	buffer_load_dword v132, off, s[44:47], 0 offset:136 ; 4-byte Folded Reload
	buffer_load_dword v133, off, s[44:47], 0 offset:140 ; 4-byte Folded Reload
	v_add_f64 v[14:15], v[154:155], v[14:15]
	v_add_f64 v[116:117], v[146:147], v[116:117]
	;; [unrolled: 1-line block ×5, first 2 shown]
	s_waitcnt vmcnt(6)
	v_add_f64 v[144:145], v[177:178], v[144:145]
	s_waitcnt vmcnt(4)
	v_add_f64 v[136:137], v[136:137], -v[150:151]
	s_waitcnt vmcnt(2)
	v_add_f64 v[138:139], v[179:180], v[138:139]
	s_waitcnt vmcnt(0)
	v_add_f64 v[132:133], v[132:133], -v[152:153]
	v_add_f64 v[118:119], v[144:145], v[118:119]
	v_add_f64 v[14:15], v[136:137], v[14:15]
	;; [unrolled: 1-line block ×4, first 2 shown]
	buffer_load_dword v118, off, s[44:47], 0 offset:112 ; 4-byte Folded Reload
	buffer_load_dword v119, off, s[44:47], 0 offset:116 ; 4-byte Folded Reload
	v_add_f64 v[14:15], v[132:133], v[14:15]
	ds_write_b128 v224, v[120:123]
	v_fma_f64 v[132:133], v[148:149], s[0:1], v[167:168]
	v_add_f64 v[126:127], v[136:137], v[138:139]
	s_waitcnt vmcnt(0)
	v_add_f64 v[128:129], v[118:119], -v[187:188]
	v_add_f64 v[118:119], v[6:7], v[12:13]
	v_add_f64 v[124:125], v[128:129], v[14:15]
	ds_write_b128 v0, v[124:127] offset:160
	ds_write_b128 v0, v[116:119] offset:320
	;; [unrolled: 1-line block ×7, first 2 shown]
	buffer_load_dword v244, off, s[44:47], 0 offset:32 ; 4-byte Folded Reload
	buffer_load_dword v245, off, s[44:47], 0 offset:36 ; 4-byte Folded Reload
	;; [unrolled: 1-line block ×8, first 2 shown]
	ds_write_b128 v0, v[250:253] offset:1280
	buffer_load_dword v252, off, s[44:47], 0 offset:64 ; 4-byte Folded Reload
	buffer_load_dword v253, off, s[44:47], 0 offset:68 ; 4-byte Folded Reload
	;; [unrolled: 1-line block ×8, first 2 shown]
	v_add_f64 v[128:129], v[132:133], v[140:141]
	ds_write_b128 v0, v[128:131] offset:1440
	ds_write_b128 v0, v[112:115] offset:1600
.LBB0_5:
	s_or_b64 exec, exec, s[18:19]
	s_waitcnt vmcnt(0) lgkmcnt(0)
	s_barrier
	global_load_dwordx4 v[116:119], v[157:158], off offset:1760
	s_add_u32 s0, s12, 0x6e0
	s_addc_u32 s1, s13, 0
	global_load_dwordx4 v[120:123], v226, s[0:1] offset:880
	global_load_dwordx4 v[124:127], v226, s[0:1] offset:176
	global_load_dwordx4 v[128:131], v226, s[0:1] offset:1056
	global_load_dwordx4 v[132:135], v226, s[0:1] offset:352
	global_load_dwordx4 v[136:139], v226, s[0:1] offset:1232
	global_load_dwordx4 v[140:143], v226, s[0:1] offset:528
	global_load_dwordx4 v[144:147], v226, s[0:1] offset:1408
	global_load_dwordx4 v[148:151], v226, s[0:1] offset:704
	global_load_dwordx4 v[152:155], v226, s[0:1] offset:1584
	ds_read_b128 v[157:160], v224
	ds_read_b128 v[161:164], v224 offset:176
	ds_read_b128 v[165:168], v224 offset:1056
	ds_read_b128 v[169:172], v224 offset:1232
	ds_read_b128 v[173:176], v224 offset:352
	ds_read_b128 v[177:180], v224 offset:528
	ds_read_b128 v[181:184], v224 offset:880
	ds_read_b128 v[185:188], v224 offset:704
	ds_read_b128 v[189:192], v224 offset:1408
	ds_read_b128 v[193:196], v224 offset:1584
	s_mov_b32 s0, 0x134454ff
	s_mov_b32 s1, 0xbfee6f0e
	s_mov_b32 s15, 0x3fee6f0e
	s_mov_b32 s14, s0
	s_mov_b32 s6, 0x4755a5e
	s_mov_b32 s7, 0xbfe2cf23
	s_mov_b32 s13, 0x3fe2cf23
	s_mov_b32 s12, s6
	s_mov_b32 s4, 0x372fe950
	s_mov_b32 s5, 0x3fd3c6ef
	s_waitcnt vmcnt(8) lgkmcnt(3)
	v_mul_f64 v[4:5], v[183:184], v[122:123]
	v_mul_f64 v[6:7], v[181:182], v[122:123]
	s_waitcnt vmcnt(7)
	v_mul_f64 v[8:9], v[163:164], v[126:127]
	v_mul_f64 v[10:11], v[161:162], v[126:127]
	s_waitcnt vmcnt(6)
	v_mul_f64 v[12:13], v[167:168], v[130:131]
	v_mul_f64 v[0:1], v[159:160], v[118:119]
	;; [unrolled: 1-line block ×4, first 2 shown]
	s_waitcnt vmcnt(5)
	v_mul_f64 v[16:17], v[175:176], v[134:135]
	v_mul_f64 v[18:19], v[173:174], v[134:135]
	s_waitcnt vmcnt(4)
	v_mul_f64 v[134:135], v[171:172], v[138:139]
	v_mul_f64 v[138:139], v[169:170], v[138:139]
	;; [unrolled: 3-line block ×3, first 2 shown]
	s_waitcnt vmcnt(2) lgkmcnt(1)
	v_mul_f64 v[199:200], v[191:192], v[146:147]
	v_mul_f64 v[146:147], v[189:190], v[146:147]
	s_waitcnt vmcnt(1)
	v_mul_f64 v[201:202], v[187:188], v[150:151]
	v_mul_f64 v[150:151], v[185:186], v[150:151]
	s_waitcnt vmcnt(0) lgkmcnt(0)
	v_mul_f64 v[203:204], v[195:196], v[154:155]
	v_mul_f64 v[154:155], v[193:194], v[154:155]
	v_fma_f64 v[157:158], v[157:158], v[116:117], -v[0:1]
	v_fma_f64 v[159:160], v[159:160], v[116:117], v[2:3]
	v_fma_f64 v[116:117], v[181:182], v[120:121], -v[4:5]
	v_fma_f64 v[118:119], v[183:184], v[120:121], v[6:7]
	;; [unrolled: 2-line block ×10, first 2 shown]
	ds_write_b128 v224, v[157:160]
	ds_write_b128 v224, v[116:119] offset:880
	ds_write_b128 v224, v[120:123] offset:176
	;; [unrolled: 1-line block ×9, first 2 shown]
	s_waitcnt lgkmcnt(0)
	s_barrier
	ds_read_b128 v[116:119], v224
	ds_read_b128 v[120:123], v224 offset:176
	ds_read_b128 v[124:127], v224 offset:1056
	ds_read_b128 v[128:131], v224 offset:1232
	ds_read_b128 v[132:135], v224 offset:352
	ds_read_b128 v[136:139], v224 offset:528
	ds_read_b128 v[140:143], v224 offset:880
	ds_read_b128 v[144:147], v224 offset:704
	ds_read_b128 v[148:151], v224 offset:1408
	ds_read_b128 v[152:155], v224 offset:1584
	s_waitcnt lgkmcnt(7)
	v_add_f64 v[124:125], v[120:121], -v[124:125]
	s_waitcnt lgkmcnt(3)
	v_add_f64 v[140:141], v[116:117], -v[140:141]
	v_add_f64 v[142:143], v[118:119], -v[142:143]
	v_add_f64 v[126:127], v[122:123], -v[126:127]
	v_add_f64 v[128:129], v[132:133], -v[128:129]
	v_add_f64 v[130:131], v[134:135], -v[130:131]
	s_waitcnt lgkmcnt(1)
	v_add_f64 v[148:149], v[136:137], -v[148:149]
	v_add_f64 v[150:151], v[138:139], -v[150:151]
	s_waitcnt lgkmcnt(0)
	v_add_f64 v[152:153], v[144:145], -v[152:153]
	v_add_f64 v[154:155], v[146:147], -v[154:155]
	v_fma_f64 v[116:117], v[116:117], 2.0, -v[140:141]
	v_fma_f64 v[118:119], v[118:119], 2.0, -v[142:143]
	;; [unrolled: 1-line block ×10, first 2 shown]
	s_barrier
	ds_write_b128 v225, v[140:143] offset:16
	ds_write_b128 v228, v[124:127] offset:16
	;; [unrolled: 1-line block ×4, first 2 shown]
	ds_write_b128 v225, v[116:119]
	ds_write_b128 v228, v[120:123]
	;; [unrolled: 1-line block ×5, first 2 shown]
	ds_write_b128 v231, v[152:155] offset:16
	s_waitcnt lgkmcnt(0)
	s_barrier
	ds_read_b128 v[116:119], v224
	ds_read_b128 v[120:123], v224 offset:176
	ds_read_b128 v[124:127], v224 offset:352
	;; [unrolled: 1-line block ×7, first 2 shown]
	s_waitcnt lgkmcnt(5)
	v_mul_f64 v[0:1], v[58:59], v[126:127]
	ds_read_b128 v[148:151], v224 offset:1408
	ds_read_b128 v[152:155], v224 offset:1584
	s_waitcnt lgkmcnt(5)
	v_mul_f64 v[4:5], v[54:55], v[134:135]
	s_waitcnt lgkmcnt(3)
	v_mul_f64 v[8:9], v[50:51], v[142:143]
	v_mul_f64 v[2:3], v[58:59], v[124:125]
	s_waitcnt lgkmcnt(1)
	v_mul_f64 v[12:13], v[46:47], v[150:151]
	v_mul_f64 v[14:15], v[46:47], v[148:149]
	;; [unrolled: 1-line block ×3, first 2 shown]
	v_fma_f64 v[0:1], v[56:57], v[124:125], v[0:1]
	v_mul_f64 v[10:11], v[50:51], v[140:141]
	v_fma_f64 v[4:5], v[52:53], v[132:133], v[4:5]
	v_fma_f64 v[8:9], v[48:49], v[140:141], v[8:9]
	v_fma_f64 v[2:3], v[56:57], v[126:127], -v[2:3]
	v_fma_f64 v[12:13], v[44:45], v[148:149], v[12:13]
	v_fma_f64 v[14:15], v[44:45], v[150:151], -v[14:15]
	v_mul_f64 v[44:45], v[66:67], v[138:139]
	v_add_f64 v[46:47], v[116:117], v[0:1]
	v_fma_f64 v[6:7], v[52:53], v[134:135], -v[6:7]
	v_fma_f64 v[10:11], v[48:49], v[142:143], -v[10:11]
	v_mul_f64 v[48:49], v[66:67], v[136:137]
	v_add_f64 v[50:51], v[4:5], v[8:9]
	v_mul_f64 v[52:53], v[62:63], v[146:147]
	v_mul_f64 v[54:55], v[62:63], v[144:145]
	v_fma_f64 v[62:63], v[64:65], v[136:137], v[44:45]
	v_add_f64 v[44:45], v[46:47], v[4:5]
	v_mul_f64 v[16:17], v[70:71], v[130:131]
	v_mul_f64 v[18:19], v[70:71], v[128:129]
	v_fma_f64 v[64:65], v[64:65], v[138:139], -v[48:49]
	v_fma_f64 v[46:47], v[50:51], -0.5, v[116:117]
	v_add_f64 v[48:49], v[2:3], -v[14:15]
	v_fma_f64 v[66:67], v[60:61], v[144:145], v[52:53]
	v_fma_f64 v[70:71], v[60:61], v[146:147], -v[54:55]
	s_waitcnt lgkmcnt(0)
	v_mul_f64 v[50:51], v[42:43], v[154:155]
	v_mul_f64 v[42:43], v[42:43], v[152:153]
	v_add_f64 v[44:45], v[44:45], v[8:9]
	v_add_f64 v[60:61], v[0:1], v[12:13]
	v_add_f64 v[54:55], v[6:7], -v[10:11]
	v_fma_f64 v[52:53], v[48:49], s[0:1], v[46:47]
	v_add_f64 v[56:57], v[0:1], -v[4:5]
	v_add_f64 v[58:59], v[12:13], -v[8:9]
	v_fma_f64 v[124:125], v[40:41], v[152:153], v[50:51]
	v_fma_f64 v[126:127], v[40:41], v[154:155], -v[42:43]
	v_add_f64 v[40:41], v[44:45], v[12:13]
	v_fma_f64 v[44:45], v[60:61], -0.5, v[116:117]
	v_fma_f64 v[46:47], v[48:49], s[14:15], v[46:47]
	v_fma_f64 v[16:17], v[68:69], v[128:129], v[16:17]
	v_fma_f64 v[18:19], v[68:69], v[130:131], -v[18:19]
	v_fma_f64 v[42:43], v[54:55], s[6:7], v[52:53]
	v_add_f64 v[50:51], v[56:57], v[58:59]
	v_add_f64 v[52:53], v[118:119], v[2:3]
	;; [unrolled: 1-line block ×3, first 2 shown]
	v_fma_f64 v[58:59], v[54:55], s[14:15], v[44:45]
	v_add_f64 v[60:61], v[4:5], -v[0:1]
	v_add_f64 v[68:69], v[8:9], -v[12:13]
	v_fma_f64 v[46:47], v[54:55], s[12:13], v[46:47]
	v_fma_f64 v[54:55], v[54:55], s[0:1], v[44:45]
	v_add_f64 v[0:1], v[0:1], -v[12:13]
	v_add_f64 v[116:117], v[52:53], v[6:7]
	v_fma_f64 v[128:129], v[56:57], -0.5, v[118:119]
	v_fma_f64 v[12:13], v[48:49], s[6:7], v[58:59]
	v_fma_f64 v[44:45], v[50:51], s[4:5], v[42:43]
	v_add_f64 v[56:57], v[60:61], v[68:69]
	v_fma_f64 v[52:53], v[50:51], s[4:5], v[46:47]
	v_add_f64 v[50:51], v[2:3], v[14:15]
	;; [unrolled: 2-line block ×3, first 2 shown]
	v_fma_f64 v[54:55], v[0:1], s[14:15], v[128:129]
	v_add_f64 v[4:5], v[4:5], -v[8:9]
	v_add_f64 v[8:9], v[62:63], v[66:67]
	v_fma_f64 v[48:49], v[56:57], s[4:5], v[12:13]
	v_add_f64 v[12:13], v[2:3], -v[6:7]
	v_add_f64 v[58:59], v[14:15], -v[10:11]
	v_fma_f64 v[50:51], v[50:51], -0.5, v[118:119]
	v_fma_f64 v[56:57], v[56:57], s[4:5], v[42:43]
	v_add_f64 v[42:43], v[46:47], v[14:15]
	v_fma_f64 v[46:47], v[4:5], s[12:13], v[54:55]
	v_add_f64 v[54:55], v[120:121], v[16:17]
	v_fma_f64 v[8:9], v[8:9], -0.5, v[120:121]
	v_add_f64 v[116:117], v[18:19], -v[126:127]
	v_add_f64 v[12:13], v[12:13], v[58:59]
	v_fma_f64 v[58:59], v[0:1], s[0:1], v[128:129]
	v_fma_f64 v[60:61], v[4:5], s[0:1], v[50:51]
	v_add_f64 v[2:3], v[6:7], -v[2:3]
	v_add_f64 v[6:7], v[10:11], -v[14:15]
	v_fma_f64 v[10:11], v[4:5], s[14:15], v[50:51]
	v_add_f64 v[14:15], v[54:55], v[62:63]
	v_fma_f64 v[50:51], v[116:117], s[0:1], v[8:9]
	v_add_f64 v[118:119], v[64:65], -v[70:71]
	v_add_f64 v[54:55], v[16:17], -v[62:63]
	;; [unrolled: 1-line block ×3, first 2 shown]
	v_fma_f64 v[4:5], v[4:5], s[6:7], v[58:59]
	v_add_f64 v[58:59], v[16:17], v[124:125]
	v_fma_f64 v[60:61], v[0:1], s[12:13], v[60:61]
	v_add_f64 v[2:3], v[2:3], v[6:7]
	;; [unrolled: 2-line block ×4, first 2 shown]
	v_fma_f64 v[46:47], v[12:13], s[4:5], v[46:47]
	v_fma_f64 v[120:121], v[58:59], -0.5, v[120:121]
	v_fma_f64 v[54:55], v[12:13], s[4:5], v[4:5]
	v_fma_f64 v[50:51], v[2:3], s[4:5], v[60:61]
	;; [unrolled: 1-line block ×3, first 2 shown]
	v_add_f64 v[0:1], v[64:65], v[70:71]
	v_fma_f64 v[2:3], v[116:117], s[14:15], v[8:9]
	v_add_f64 v[8:9], v[18:19], v[126:127]
	v_add_f64 v[60:61], v[6:7], v[124:125]
	v_fma_f64 v[68:69], v[14:15], s[4:5], v[10:11]
	v_add_f64 v[6:7], v[62:63], -v[16:17]
	v_add_f64 v[10:11], v[66:67], -v[124:125]
	v_add_f64 v[12:13], v[122:123], v[18:19]
	v_fma_f64 v[0:1], v[0:1], -0.5, v[122:123]
	v_add_f64 v[16:17], v[16:17], -v[124:125]
	v_add_f64 v[62:63], v[62:63], -v[66:67]
	v_fma_f64 v[8:9], v[8:9], -0.5, v[122:123]
	v_fma_f64 v[4:5], v[118:119], s[14:15], v[120:121]
	v_fma_f64 v[2:3], v[118:119], s[12:13], v[2:3]
	v_add_f64 v[6:7], v[6:7], v[10:11]
	v_fma_f64 v[10:11], v[118:119], s[0:1], v[120:121]
	v_add_f64 v[12:13], v[12:13], v[64:65]
	v_fma_f64 v[66:67], v[16:17], s[14:15], v[0:1]
	v_add_f64 v[118:119], v[18:19], -v[64:65]
	v_add_f64 v[120:121], v[126:127], -v[70:71]
	v_fma_f64 v[0:1], v[16:17], s[0:1], v[0:1]
	v_fma_f64 v[122:123], v[62:63], s[0:1], v[8:9]
	v_add_f64 v[18:19], v[64:65], -v[18:19]
	v_add_f64 v[64:65], v[70:71], -v[126:127]
	v_fma_f64 v[8:9], v[62:63], s[14:15], v[8:9]
	v_fma_f64 v[4:5], v[116:117], s[6:7], v[4:5]
	;; [unrolled: 1-line block ×3, first 2 shown]
	v_add_f64 v[12:13], v[12:13], v[70:71]
	v_fma_f64 v[66:67], v[62:63], s[12:13], v[66:67]
	v_add_f64 v[118:119], v[118:119], v[120:121]
	v_fma_f64 v[0:1], v[62:63], s[6:7], v[0:1]
	v_fma_f64 v[122:123], v[16:17], s[12:13], v[122:123]
	v_add_f64 v[18:19], v[18:19], v[64:65]
	v_fma_f64 v[8:9], v[16:17], s[6:7], v[8:9]
	v_fma_f64 v[64:65], v[14:15], s[4:5], v[2:3]
	;; [unrolled: 1-line block ×4, first 2 shown]
	v_add_f64 v[62:63], v[12:13], v[126:127]
	v_fma_f64 v[70:71], v[118:119], s[4:5], v[66:67]
	v_fma_f64 v[66:67], v[118:119], s[4:5], v[0:1]
	;; [unrolled: 1-line block ×4, first 2 shown]
	s_barrier
	ds_write_b128 v230, v[40:43]
	ds_write_b128 v230, v[44:47] offset:32
	ds_write_b128 v230, v[48:51] offset:64
	;; [unrolled: 1-line block ×4, first 2 shown]
	ds_write_b128 v229, v[60:63]
	ds_write_b128 v229, v[68:71] offset:32
	ds_write_b128 v229, v[120:123] offset:64
	;; [unrolled: 1-line block ×4, first 2 shown]
	s_waitcnt lgkmcnt(0)
	s_barrier
	s_and_saveexec_b64 s[0:1], vcc
	s_cbranch_execz .LBB0_7
; %bb.6:
	ds_read_b128 v[40:43], v224
	ds_read_b128 v[44:47], v224 offset:160
	ds_read_b128 v[48:51], v224 offset:320
	;; [unrolled: 1-line block ×10, first 2 shown]
.LBB0_7:
	s_or_b64 exec, exec, s[0:1]
	s_and_saveexec_b64 s[0:1], vcc
	s_cbranch_execz .LBB0_9
; %bb.8:
	s_waitcnt lgkmcnt(5)
	v_mul_f64 v[0:1], v[110:111], v[62:63]
	s_waitcnt lgkmcnt(4)
	v_mul_f64 v[2:3], v[106:107], v[70:71]
	v_mul_f64 v[4:5], v[110:111], v[60:61]
	;; [unrolled: 1-line block ×4, first 2 shown]
	s_waitcnt lgkmcnt(3)
	v_mul_f64 v[10:11], v[102:103], v[122:123]
	v_mul_f64 v[14:15], v[78:79], v[44:45]
	s_waitcnt lgkmcnt(0)
	v_mul_f64 v[16:17], v[94:95], v[112:113]
	v_fma_f64 v[106:107], v[108:109], v[60:61], v[0:1]
	v_fma_f64 v[60:61], v[104:105], v[68:69], v[2:3]
	v_mul_f64 v[0:1], v[86:87], v[52:53]
	v_mul_f64 v[2:3], v[102:103], v[120:121]
	v_fma_f64 v[86:87], v[108:109], v[62:63], -v[4:5]
	v_mul_f64 v[4:5], v[82:83], v[58:59]
	v_fma_f64 v[68:69], v[104:105], v[70:71], -v[6:7]
	v_fma_f64 v[102:103], v[84:85], v[52:53], v[8:9]
	v_fma_f64 v[62:63], v[100:101], v[120:121], v[10:11]
	v_mul_f64 v[8:9], v[78:79], v[46:47]
	v_mul_f64 v[10:11], v[94:95], v[114:115]
	v_fma_f64 v[70:71], v[100:101], v[122:123], -v[2:3]
	v_mul_f64 v[2:3], v[82:83], v[56:57]
	v_fma_f64 v[108:109], v[80:81], v[56:57], v[4:5]
	v_mul_f64 v[4:5], v[98:99], v[116:117]
	v_mul_f64 v[6:7], v[98:99], v[118:119]
	s_mov_b32 s20, 0xfd768dbf
	s_mov_b32 s21, 0xbfd207e7
	v_fma_f64 v[78:79], v[92:93], v[112:113], v[10:11]
	v_fma_f64 v[10:11], v[76:77], v[46:47], -v[14:15]
	v_fma_f64 v[80:81], v[80:81], v[58:59], -v[2:3]
	v_mul_f64 v[2:3], v[74:75], v[50:51]
	v_fma_f64 v[58:59], v[96:97], v[118:119], -v[4:5]
	v_mul_f64 v[4:5], v[90:91], v[66:67]
	v_fma_f64 v[84:85], v[84:85], v[54:55], -v[0:1]
	v_fma_f64 v[54:55], v[96:97], v[116:117], v[6:7]
	s_mov_b32 s26, 0xf8bb580b
	s_mov_b32 s18, 0x9bcd5057
	;; [unrolled: 1-line block ×3, first 2 shown]
	v_fma_f64 v[94:95], v[72:73], v[48:49], v[2:3]
	v_fma_f64 v[2:3], v[76:77], v[44:45], v[8:9]
	;; [unrolled: 1-line block ×3, first 2 shown]
	v_mul_f64 v[4:5], v[74:75], v[48:49]
	v_mul_f64 v[8:9], v[90:91], v[64:65]
	v_fma_f64 v[48:49], v[92:93], v[114:115], -v[16:17]
	s_mov_b32 s19, 0xbfeeb42a
	v_add_f64 v[98:99], v[108:109], -v[54:55]
	v_add_f64 v[122:123], v[80:81], -v[58:59]
	v_add_f64 v[16:17], v[2:3], -v[78:79]
	v_add_f64 v[14:15], v[94:95], -v[82:83]
	v_fma_f64 v[4:5], v[72:73], v[50:51], -v[4:5]
	v_fma_f64 v[50:51], v[88:89], v[66:67], -v[8:9]
	v_add_f64 v[8:9], v[10:11], -v[48:49]
	v_add_f64 v[76:77], v[10:11], v[48:49]
	v_add_f64 v[118:119], v[2:3], v[78:79]
	;; [unrolled: 1-line block ×3, first 2 shown]
	v_mul_f64 v[18:19], v[16:17], s[20:21]
	v_mul_f64 v[44:45], v[14:15], s[26:27]
	s_mov_b32 s14, 0xbb3a28a1
	v_add_f64 v[92:93], v[4:5], -v[50:51]
	v_mul_f64 v[64:65], v[8:9], s[20:21]
	v_add_f64 v[120:121], v[4:5], v[50:51]
	s_mov_b32 s22, 0x8764f0ba
	s_mov_b32 s15, 0xbfe82f19
	v_fma_f64 v[46:47], v[76:77], s[18:19], v[18:19]
	s_mov_b32 s23, 0x3feaeb8c
	v_add_f64 v[100:101], v[102:103], -v[62:63]
	v_mul_f64 v[66:67], v[92:93], s[26:27]
	v_fma_f64 v[72:73], v[118:119], s[18:19], -v[64:65]
	v_mul_f64 v[12:13], v[98:99], s[14:15]
	v_add_f64 v[96:97], v[80:81], v[58:59]
	v_fma_f64 v[74:75], v[120:121], s[22:23], v[44:45]
	v_add_f64 v[46:47], v[42:43], v[46:47]
	v_add_f64 v[126:127], v[84:85], -v[70:71]
	v_add_f64 v[128:129], v[108:109], v[54:55]
	v_mul_f64 v[88:89], v[122:123], s[14:15]
	v_fma_f64 v[90:91], v[124:125], s[22:23], -v[66:67]
	v_add_f64 v[72:73], v[40:41], v[72:73]
	s_mov_b32 s7, 0x3fed1bb4
	s_mov_b32 s6, 0x8eee2c13
	v_add_f64 v[104:105], v[106:107], -v[60:61]
	v_mul_f64 v[6:7], v[100:101], s[6:7]
	v_add_f64 v[56:57], v[84:85], v[70:71]
	v_fma_f64 v[110:111], v[96:97], s[16:17], v[12:13]
	v_fma_f64 v[18:19], v[76:77], s[18:19], -v[18:19]
	v_add_f64 v[46:47], v[74:75], v[46:47]
	v_add_f64 v[130:131], v[86:87], -v[68:69]
	v_add_f64 v[132:133], v[102:103], v[62:63]
	v_mul_f64 v[74:75], v[126:127], s[6:7]
	v_fma_f64 v[112:113], v[128:129], s[16:17], -v[88:89]
	v_add_f64 v[72:73], v[90:91], v[72:73]
	s_mov_b32 s4, 0x43842ef
	s_mov_b32 s12, 0xd9c712b6
	;; [unrolled: 1-line block ×4, first 2 shown]
	v_add_f64 v[52:53], v[86:87], v[68:69]
	v_mul_f64 v[0:1], v[104:105], s[4:5]
	v_fma_f64 v[44:45], v[120:121], s[22:23], -v[44:45]
	v_add_f64 v[18:19], v[42:43], v[18:19]
	v_fma_f64 v[90:91], v[56:57], s[12:13], v[6:7]
	v_add_f64 v[46:47], v[110:111], v[46:47]
	v_add_f64 v[134:135], v[106:107], v[60:61]
	v_mul_f64 v[110:111], v[130:131], s[4:5]
	v_fma_f64 v[114:115], v[132:133], s[12:13], -v[74:75]
	v_add_f64 v[72:73], v[112:113], v[72:73]
	s_mov_b32 s24, 0x640f44db
	s_mov_b32 s25, 0xbfc2375f
	v_fma_f64 v[12:13], v[96:97], s[16:17], -v[12:13]
	v_add_f64 v[18:19], v[44:45], v[18:19]
	v_fma_f64 v[44:45], v[52:53], s[24:25], v[0:1]
	v_add_f64 v[46:47], v[90:91], v[46:47]
	v_fma_f64 v[90:91], v[134:135], s[24:25], -v[110:111]
	v_add_f64 v[72:73], v[114:115], v[72:73]
	v_fma_f64 v[6:7], v[56:57], s[12:13], -v[6:7]
	v_fma_f64 v[64:65], v[118:119], s[18:19], v[64:65]
	s_mov_b32 s31, 0x3fefac9e
	v_add_f64 v[12:13], v[12:13], v[18:19]
	v_mul_f64 v[18:19], v[16:17], s[14:15]
	v_add_f64 v[46:47], v[44:45], v[46:47]
	s_mov_b32 s30, s4
	v_add_f64 v[44:45], v[90:91], v[72:73]
	v_fma_f64 v[72:73], v[128:129], s[16:17], v[88:89]
	v_mul_f64 v[88:89], v[8:9], s[14:15]
	v_fma_f64 v[66:67], v[124:125], s[22:23], v[66:67]
	v_add_f64 v[6:7], v[6:7], v[12:13]
	v_fma_f64 v[12:13], v[134:135], s[24:25], v[110:111]
	v_mul_f64 v[90:91], v[14:15], s[30:31]
	v_fma_f64 v[110:111], v[76:77], s[16:17], v[18:19]
	v_add_f64 v[64:65], v[40:41], v[64:65]
	v_mul_f64 v[112:113], v[92:93], s[30:31]
	v_fma_f64 v[114:115], v[118:119], s[16:17], -v[88:89]
	s_mov_b32 s29, 0xbfe14ced
	s_mov_b32 s28, s26
	v_mul_f64 v[116:117], v[98:99], s[28:29]
	v_fma_f64 v[136:137], v[120:121], s[24:25], v[90:91]
	v_add_f64 v[110:111], v[42:43], v[110:111]
	v_add_f64 v[64:65], v[66:67], v[64:65]
	v_fma_f64 v[66:67], v[132:133], s[12:13], v[74:75]
	v_mul_f64 v[138:139], v[122:123], s[28:29]
	v_fma_f64 v[74:75], v[124:125], s[24:25], -v[112:113]
	v_add_f64 v[114:115], v[40:41], v[114:115]
	v_fma_f64 v[18:19], v[76:77], s[16:17], -v[18:19]
	v_mul_f64 v[140:141], v[100:101], s[20:21]
	v_fma_f64 v[142:143], v[96:97], s[22:23], v[116:117]
	v_add_f64 v[110:111], v[136:137], v[110:111]
	v_add_f64 v[64:65], v[72:73], v[64:65]
	v_mul_f64 v[136:137], v[126:127], s[20:21]
	v_fma_f64 v[72:73], v[128:129], s[22:23], -v[138:139]
	v_add_f64 v[74:75], v[74:75], v[114:115]
	v_fma_f64 v[90:91], v[120:121], s[24:25], -v[90:91]
	v_add_f64 v[18:19], v[42:43], v[18:19]
	v_fma_f64 v[0:1], v[52:53], s[24:25], -v[0:1]
	v_mul_f64 v[114:115], v[104:105], s[6:7]
	v_fma_f64 v[144:145], v[56:57], s[18:19], v[140:141]
	v_add_f64 v[110:111], v[142:143], v[110:111]
	v_mul_f64 v[142:143], v[130:131], s[6:7]
	v_fma_f64 v[146:147], v[132:133], s[18:19], -v[136:137]
	v_add_f64 v[72:73], v[72:73], v[74:75]
	v_fma_f64 v[116:117], v[96:97], s[22:23], -v[116:117]
	v_fma_f64 v[88:89], v[118:119], s[16:17], v[88:89]
	v_add_f64 v[18:19], v[90:91], v[18:19]
	v_add_f64 v[64:65], v[66:67], v[64:65]
	v_fma_f64 v[74:75], v[52:53], s[12:13], v[114:115]
	v_add_f64 v[90:91], v[144:145], v[110:111]
	v_fma_f64 v[110:111], v[134:135], s[12:13], -v[142:143]
	v_add_f64 v[72:73], v[146:147], v[72:73]
	v_add_f64 v[66:67], v[0:1], v[6:7]
	v_fma_f64 v[0:1], v[56:57], s[18:19], -v[140:141]
	v_fma_f64 v[6:7], v[124:125], s[24:25], v[112:113]
	v_add_f64 v[88:89], v[40:41], v[88:89]
	v_add_f64 v[18:19], v[116:117], v[18:19]
	;; [unrolled: 1-line block ×5, first 2 shown]
	v_fma_f64 v[12:13], v[52:53], s[12:13], -v[114:115]
	v_fma_f64 v[90:91], v[128:129], s[22:23], v[138:139]
	v_mul_f64 v[110:111], v[16:17], s[4:5]
	v_add_f64 v[6:7], v[6:7], v[88:89]
	v_add_f64 v[0:1], v[0:1], v[18:19]
	v_mul_f64 v[112:113], v[8:9], s[4:5]
	s_mov_b32 s35, 0x3fd207e7
	s_mov_b32 s34, s20
	v_fma_f64 v[18:19], v[132:133], s[18:19], v[136:137]
	v_mul_f64 v[88:89], v[14:15], s[34:35]
	v_fma_f64 v[114:115], v[76:77], s[24:25], v[110:111]
	v_add_f64 v[6:7], v[90:91], v[6:7]
	v_add_f64 v[90:91], v[12:13], v[0:1]
	v_mul_f64 v[12:13], v[92:93], s[34:35]
	v_fma_f64 v[116:117], v[118:119], s[24:25], -v[112:113]
	v_mul_f64 v[136:137], v[98:99], s[6:7]
	v_fma_f64 v[110:111], v[76:77], s[24:25], -v[110:111]
	v_fma_f64 v[138:139], v[120:121], s[18:19], v[88:89]
	v_add_f64 v[114:115], v[42:43], v[114:115]
	v_add_f64 v[6:7], v[18:19], v[6:7]
	v_mul_f64 v[18:19], v[122:123], s[6:7]
	v_fma_f64 v[140:141], v[124:125], s[18:19], -v[12:13]
	v_add_f64 v[116:117], v[40:41], v[116:117]
	v_fma_f64 v[0:1], v[134:135], s[12:13], v[142:143]
	v_mul_f64 v[142:143], v[100:101], s[28:29]
	v_fma_f64 v[144:145], v[96:97], s[12:13], v[136:137]
	v_add_f64 v[114:115], v[138:139], v[114:115]
	v_mul_f64 v[138:139], v[126:127], s[28:29]
	v_fma_f64 v[88:89], v[120:121], s[18:19], -v[88:89]
	v_add_f64 v[110:111], v[42:43], v[110:111]
	v_fma_f64 v[146:147], v[128:129], s[12:13], -v[18:19]
	v_add_f64 v[116:117], v[140:141], v[116:117]
	v_mul_f64 v[140:141], v[104:105], s[14:15]
	v_fma_f64 v[148:149], v[56:57], s[22:23], v[142:143]
	v_add_f64 v[114:115], v[144:145], v[114:115]
	v_mul_f64 v[144:145], v[130:131], s[14:15]
	v_fma_f64 v[136:137], v[96:97], s[12:13], -v[136:137]
	v_add_f64 v[110:111], v[88:89], v[110:111]
	v_fma_f64 v[150:151], v[132:133], s[22:23], -v[138:139]
	v_add_f64 v[116:117], v[146:147], v[116:117]
	v_fma_f64 v[112:113], v[118:119], s[24:25], v[112:113]
	s_mov_b32 s7, 0xbfed1bb4
	v_add_f64 v[88:89], v[0:1], v[6:7]
	v_fma_f64 v[0:1], v[52:53], s[16:17], v[140:141]
	v_add_f64 v[6:7], v[148:149], v[114:115]
	v_fma_f64 v[114:115], v[56:57], s[22:23], -v[142:143]
	v_add_f64 v[110:111], v[136:137], v[110:111]
	v_fma_f64 v[136:137], v[134:135], s[16:17], -v[144:145]
	v_add_f64 v[116:117], v[150:151], v[116:117]
	v_fma_f64 v[12:13], v[124:125], s[18:19], v[12:13]
	v_mul_f64 v[142:143], v[16:17], s[6:7]
	v_add_f64 v[146:147], v[40:41], v[112:113]
	v_fma_f64 v[140:141], v[52:53], s[16:17], -v[140:141]
	v_add_f64 v[112:113], v[0:1], v[6:7]
	v_add_f64 v[114:115], v[114:115], v[110:111]
	v_fma_f64 v[6:7], v[128:129], s[12:13], v[18:19]
	v_add_f64 v[110:111], v[136:137], v[116:117]
	v_mul_f64 v[18:19], v[14:15], s[14:15]
	v_fma_f64 v[136:137], v[76:77], s[12:13], v[142:143]
	v_add_f64 v[12:13], v[12:13], v[146:147]
	v_mul_f64 v[0:1], v[8:9], s[6:7]
	v_mul_f64 v[146:147], v[98:99], s[34:35]
	v_add_f64 v[116:117], v[140:141], v[114:115]
	v_fma_f64 v[114:115], v[132:133], s[22:23], v[138:139]
	v_add_f64 v[10:11], v[42:43], v[10:11]
	v_fma_f64 v[148:149], v[120:121], s[16:17], v[18:19]
	v_add_f64 v[136:137], v[42:43], v[136:137]
	v_add_f64 v[6:7], v[6:7], v[12:13]
	v_add_f64 v[2:3], v[40:41], v[2:3]
	v_mul_f64 v[138:139], v[92:93], s[14:15]
	v_fma_f64 v[140:141], v[118:119], s[12:13], -v[0:1]
	v_fma_f64 v[154:155], v[96:97], s[18:19], v[146:147]
	v_add_f64 v[4:5], v[10:11], v[4:5]
	v_fma_f64 v[12:13], v[134:135], s[16:17], v[144:145]
	v_add_f64 v[136:137], v[148:149], v[136:137]
	v_add_f64 v[6:7], v[114:115], v[6:7]
	v_fma_f64 v[114:115], v[76:77], s[12:13], -v[142:143]
	v_add_f64 v[2:3], v[2:3], v[94:95]
	v_mul_f64 v[144:145], v[122:123], s[34:35]
	v_fma_f64 v[150:151], v[124:125], s[16:17], -v[138:139]
	v_add_f64 v[140:141], v[40:41], v[140:141]
	v_fma_f64 v[18:19], v[120:121], s[16:17], -v[18:19]
	v_add_f64 v[136:137], v[154:155], v[136:137]
	v_add_f64 v[4:5], v[4:5], v[80:81]
	;; [unrolled: 1-line block ×4, first 2 shown]
	v_mul_f64 v[152:153], v[100:101], s[30:31]
	v_fma_f64 v[148:149], v[128:129], s[18:19], -v[144:145]
	v_add_f64 v[140:141], v[150:151], v[140:141]
	v_mul_f64 v[150:151], v[104:105], s[26:27]
	v_add_f64 v[114:115], v[12:13], v[6:7]
	v_fma_f64 v[12:13], v[96:97], s[18:19], -v[146:147]
	v_fma_f64 v[0:1], v[118:119], s[12:13], v[0:1]
	v_add_f64 v[18:19], v[18:19], v[154:155]
	v_mul_f64 v[16:17], v[16:17], s[28:29]
	v_add_f64 v[4:5], v[4:5], v[84:85]
	v_add_f64 v[2:3], v[2:3], v[102:103]
	v_mul_f64 v[8:9], v[8:9], s[28:29]
	v_add_f64 v[140:141], v[148:149], v[140:141]
	v_fma_f64 v[6:7], v[52:53], s[22:23], v[150:151]
	v_fma_f64 v[148:149], v[56:57], s[24:25], -v[152:153]
	v_fma_f64 v[138:139], v[124:125], s[16:17], v[138:139]
	v_add_f64 v[0:1], v[40:41], v[0:1]
	v_add_f64 v[12:13], v[12:13], v[18:19]
	v_fma_f64 v[18:19], v[52:53], s[22:23], -v[150:151]
	v_mul_f64 v[14:15], v[14:15], s[6:7]
	v_fma_f64 v[150:151], v[76:77], s[22:23], v[16:17]
	v_fma_f64 v[16:17], v[76:77], s[22:23], -v[16:17]
	v_add_f64 v[4:5], v[4:5], v[86:87]
	v_add_f64 v[2:3], v[2:3], v[106:107]
	v_mul_f64 v[76:77], v[92:93], s[6:7]
	v_fma_f64 v[86:87], v[118:119], s[22:23], v[8:9]
	v_add_f64 v[0:1], v[138:139], v[0:1]
	v_add_f64 v[12:13], v[148:149], v[12:13]
	v_mul_f64 v[10:11], v[98:99], s[4:5]
	v_fma_f64 v[98:99], v[120:121], s[12:13], v[14:15]
	v_add_f64 v[138:139], v[42:43], v[150:151]
	v_mul_f64 v[92:93], v[122:123], s[4:5]
	v_fma_f64 v[8:9], v[118:119], s[22:23], -v[8:9]
	v_fma_f64 v[14:15], v[120:121], s[12:13], -v[14:15]
	v_add_f64 v[16:17], v[42:43], v[16:17]
	v_add_f64 v[4:5], v[4:5], v[68:69]
	;; [unrolled: 1-line block ×3, first 2 shown]
	v_fma_f64 v[42:43], v[124:125], s[12:13], v[76:77]
	v_add_f64 v[60:61], v[40:41], v[86:87]
	v_add_f64 v[94:95], v[18:19], v[12:13]
	v_mul_f64 v[12:13], v[100:101], s[14:15]
	v_fma_f64 v[18:19], v[96:97], s[24:25], v[10:11]
	v_add_f64 v[80:81], v[98:99], v[138:139]
	v_mul_f64 v[102:103], v[126:127], s[14:15]
	v_fma_f64 v[68:69], v[124:125], s[12:13], -v[76:77]
	v_add_f64 v[8:9], v[40:41], v[8:9]
	v_fma_f64 v[10:11], v[96:97], s[24:25], -v[10:11]
	v_add_f64 v[14:15], v[14:15], v[16:17]
	v_add_f64 v[4:5], v[4:5], v[70:71]
	;; [unrolled: 1-line block ×3, first 2 shown]
	v_fma_f64 v[16:17], v[128:129], s[24:25], v[92:93]
	v_add_f64 v[40:41], v[42:43], v[60:61]
	v_mul_f64 v[142:143], v[126:127], s[30:31]
	v_fma_f64 v[144:145], v[128:129], s[18:19], v[144:145]
	v_mul_f64 v[100:101], v[104:105], s[20:21]
	v_fma_f64 v[84:85], v[56:57], s[16:17], v[12:13]
	v_add_f64 v[18:19], v[18:19], v[80:81]
	v_mul_f64 v[80:81], v[130:131], s[20:21]
	v_fma_f64 v[42:43], v[128:129], s[24:25], -v[92:93]
	v_add_f64 v[8:9], v[68:69], v[8:9]
	v_fma_f64 v[12:13], v[56:57], s[16:17], -v[12:13]
	v_add_f64 v[10:11], v[10:11], v[14:15]
	v_add_f64 v[4:5], v[4:5], v[58:59]
	;; [unrolled: 1-line block ×3, first 2 shown]
	v_fma_f64 v[14:15], v[132:133], s[16:17], v[102:103]
	v_add_f64 v[16:17], v[16:17], v[40:41]
	v_mul_f64 v[159:160], v[130:131], s[26:27]
	v_fma_f64 v[161:162], v[132:133], s[24:25], -v[142:143]
	v_fma_f64 v[142:143], v[132:133], s[24:25], v[142:143]
	v_add_f64 v[0:1], v[144:145], v[0:1]
	v_fma_f64 v[157:158], v[56:57], s[24:25], v[152:153]
	v_fma_f64 v[40:41], v[132:133], s[16:17], -v[102:103]
	v_add_f64 v[8:9], v[42:43], v[8:9]
	v_fma_f64 v[54:55], v[52:53], s[18:19], -v[100:101]
	v_add_f64 v[10:11], v[12:13], v[10:11]
	v_add_f64 v[4:5], v[4:5], v[50:51]
	v_add_f64 v[2:3], v[2:3], v[82:83]
	v_fma_f64 v[12:13], v[134:135], s[18:19], v[80:81]
	v_add_f64 v[14:15], v[14:15], v[16:17]
	v_fma_f64 v[98:99], v[134:135], s[22:23], v[159:160]
	v_add_f64 v[0:1], v[142:143], v[0:1]
	v_add_f64 v[136:137], v[157:158], v[136:137]
	v_fma_f64 v[146:147], v[134:135], s[22:23], -v[159:160]
	v_add_f64 v[140:141], v[161:162], v[140:141]
	v_fma_f64 v[16:17], v[52:53], s[18:19], v[100:101]
	v_add_f64 v[18:19], v[84:85], v[18:19]
	v_fma_f64 v[56:57], v[134:135], s[18:19], -v[80:81]
	v_add_f64 v[8:9], v[40:41], v[8:9]
	v_add_f64 v[42:43], v[4:5], v[48:49]
	;; [unrolled: 1-line block ×6, first 2 shown]
	v_lshl_add_u32 v0, v223, 4, v227
	v_add_f64 v[54:55], v[6:7], v[136:137]
	v_add_f64 v[52:53], v[146:147], v[140:141]
	v_add_f64 v[58:59], v[16:17], v[18:19]
	v_add_f64 v[56:57], v[56:57], v[8:9]
	ds_write_b128 v224, v[40:43]
	ds_write_b128 v0, v[48:51] offset:160
	ds_write_b128 v0, v[92:95] offset:320
	;; [unrolled: 1-line block ×10, first 2 shown]
.LBB0_9:
	s_or_b64 exec, exec, s[0:1]
	s_waitcnt lgkmcnt(0)
	s_barrier
	ds_read_b128 v[40:43], v224
	ds_read_b128 v[44:47], v224 offset:176
	v_mad_u64_u32 v[0:1], s[0:1], s10, v156, 0
	v_mad_u64_u32 v[7:8], s[0:1], s8, v223, 0
	s_waitcnt lgkmcnt(1)
	v_mul_f64 v[2:3], v[38:39], v[42:43]
	ds_read_b128 v[48:51], v224 offset:704
	v_mad_u64_u32 v[4:5], s[0:1], s11, v156, v[1:2]
	v_mul_f64 v[5:6], v[38:39], v[40:41]
	v_fma_f64 v[2:3], v[36:37], v[40:41], v[2:3]
	v_mov_b32_e32 v1, v4
	s_mov_b32 s0, 0x29e4129e
	s_mov_b32 s1, 0x3f829e41
	v_lshlrev_b64 v[0:1], 4, v[0:1]
	v_fma_f64 v[4:5], v[36:37], v[42:43], -v[5:6]
	ds_read_b128 v[36:39], v224 offset:880
	v_mul_f64 v[40:41], v[2:3], s[0:1]
	v_mov_b32_e32 v6, v8
	v_mad_u64_u32 v[8:9], s[4:5], s9, v223, v[6:7]
	s_waitcnt lgkmcnt(0)
	v_mul_f64 v[2:3], v[242:243], v[38:39]
	v_mov_b32_e32 v6, s3
	v_mul_f64 v[42:43], v[4:5], s[0:1]
	v_mul_f64 v[4:5], v[242:243], v[36:37]
	v_add_co_u32_e32 v9, vcc, s2, v0
	v_addc_co_u32_e32 v10, vcc, v6, v1, vcc
	v_fma_f64 v[0:1], v[240:241], v[36:37], v[2:3]
	v_lshlrev_b64 v[2:3], 4, v[7:8]
	s_mul_i32 s2, s9, 0x370
	v_fma_f64 v[4:5], v[240:241], v[38:39], -v[4:5]
	v_add_co_u32_e32 v6, vcc, v9, v2
	v_addc_co_u32_e32 v7, vcc, v10, v3, vcc
	v_mul_f64 v[8:9], v[246:247], v[46:47]
	v_mul_f64 v[10:11], v[246:247], v[44:45]
	;; [unrolled: 1-line block ×4, first 2 shown]
	s_mul_hi_u32 s3, s8, 0x370
	s_add_i32 s2, s3, s2
	s_mul_i32 s3, s8, 0x370
	v_mov_b32_e32 v12, s2
	v_fma_f64 v[4:5], v[244:245], v[44:45], v[8:9]
	v_fma_f64 v[8:9], v[244:245], v[46:47], -v[10:11]
	v_add_co_u32_e32 v10, vcc, s3, v6
	v_addc_co_u32_e32 v11, vcc, v7, v12, vcc
	global_store_dwordx4 v[6:7], v[40:43], off
	global_store_dwordx4 v[10:11], v[0:3], off
	ds_read_b128 v[0:3], v224 offset:1056
	ds_read_b128 v[36:39], v224 offset:1232
	v_mul_f64 v[6:7], v[8:9], s[0:1]
	v_mul_f64 v[4:5], v[4:5], s[0:1]
	s_mul_hi_u32 s5, s8, 0xfffffd40
	s_waitcnt lgkmcnt(1)
	v_mul_f64 v[8:9], v[22:23], v[2:3]
	v_mul_f64 v[12:13], v[22:23], v[0:1]
	s_mul_i32 s4, s9, 0xfffffd40
	s_sub_i32 s5, s5, s8
	s_add_i32 s4, s5, s4
	s_mul_i32 s5, s8, 0xfffffd40
	v_mov_b32_e32 v18, s4
	v_add_co_u32_e32 v10, vcc, s5, v10
	v_fma_f64 v[8:9], v[20:21], v[0:1], v[8:9]
	v_fma_f64 v[12:13], v[20:21], v[2:3], -v[12:13]
	v_addc_co_u32_e32 v11, vcc, v11, v18, vcc
	global_store_dwordx4 v[10:11], v[4:7], off
	v_mov_b32_e32 v18, s2
	v_add_co_u32_e32 v10, vcc, s3, v10
	v_mul_f64 v[4:5], v[8:9], s[0:1]
	v_mul_f64 v[6:7], v[12:13], s[0:1]
	v_addc_co_u32_e32 v11, vcc, v11, v18, vcc
	ds_read_b128 v[40:43], v224 offset:352
	ds_read_b128 v[0:3], v224 offset:528
	v_mov_b32_e32 v19, s4
	v_add_co_u32_e32 v18, vcc, s5, v10
	global_store_dwordx4 v[10:11], v[4:7], off
	buffer_load_dword v20, off, s[44:47], 0 ; 4-byte Folded Reload
	buffer_load_dword v21, off, s[44:47], 0 offset:4 ; 4-byte Folded Reload
	buffer_load_dword v22, off, s[44:47], 0 offset:8 ; 4-byte Folded Reload
	;; [unrolled: 1-line block ×3, first 2 shown]
	s_waitcnt lgkmcnt(1)
	v_mul_f64 v[14:15], v[30:31], v[42:43]
	v_mul_f64 v[16:17], v[30:31], v[40:41]
	v_addc_co_u32_e32 v19, vcc, v11, v19, vcc
	v_fma_f64 v[8:9], v[28:29], v[40:41], v[14:15]
	v_fma_f64 v[12:13], v[28:29], v[42:43], -v[16:17]
	v_mul_f64 v[14:15], v[250:251], v[38:39]
	v_mul_f64 v[16:17], v[250:251], v[36:37]
	;; [unrolled: 1-line block ×4, first 2 shown]
	v_fma_f64 v[8:9], v[248:249], v[36:37], v[14:15]
	v_fma_f64 v[12:13], v[248:249], v[38:39], -v[16:17]
	global_store_dwordx4 v[18:19], v[4:7], off
	s_nop 0
	v_mul_f64 v[4:5], v[8:9], s[0:1]
	ds_read_b128 v[8:11], v224 offset:1408
	v_mul_f64 v[6:7], v[12:13], s[0:1]
	v_add_co_u32_e32 v18, vcc, s3, v18
	s_waitcnt vmcnt(1) lgkmcnt(1)
	v_mul_f64 v[14:15], v[22:23], v[2:3]
	v_mul_f64 v[16:17], v[22:23], v[0:1]
	v_mov_b32_e32 v22, s2
	v_addc_co_u32_e32 v19, vcc, v19, v22, vcc
	global_store_dwordx4 v[18:19], v[4:7], off
	v_fma_f64 v[12:13], v[20:21], v[0:1], v[14:15]
	v_fma_f64 v[14:15], v[20:21], v[2:3], -v[16:17]
	ds_read_b128 v[0:3], v224 offset:1584
	s_waitcnt lgkmcnt(1)
	v_mul_f64 v[16:17], v[254:255], v[10:11]
	v_mul_f64 v[20:21], v[254:255], v[8:9]
	;; [unrolled: 1-line block ×5, first 2 shown]
	v_fma_f64 v[8:9], v[252:253], v[8:9], v[16:17]
	v_fma_f64 v[10:11], v[252:253], v[10:11], -v[20:21]
	v_mul_f64 v[16:17], v[26:27], v[48:49]
	v_mov_b32_e32 v13, s4
	v_add_co_u32_e32 v12, vcc, s5, v18
	v_addc_co_u32_e32 v13, vcc, v19, v13, vcc
	s_waitcnt lgkmcnt(0)
	v_mul_f64 v[18:19], v[34:35], v[2:3]
	v_mul_f64 v[20:21], v[34:35], v[0:1]
	global_store_dwordx4 v[12:13], v[4:7], off
	v_add_co_u32_e32 v12, vcc, s3, v12
	v_mul_f64 v[4:5], v[8:9], s[0:1]
	v_mul_f64 v[6:7], v[10:11], s[0:1]
	v_fma_f64 v[8:9], v[24:25], v[48:49], v[14:15]
	v_fma_f64 v[10:11], v[24:25], v[50:51], -v[16:17]
	v_fma_f64 v[14:15], v[32:33], v[0:1], v[18:19]
	v_fma_f64 v[16:17], v[32:33], v[2:3], -v[20:21]
	v_addc_co_u32_e32 v13, vcc, v13, v22, vcc
	global_store_dwordx4 v[12:13], v[4:7], off
	v_mul_f64 v[0:1], v[8:9], s[0:1]
	v_mul_f64 v[2:3], v[10:11], s[0:1]
	;; [unrolled: 1-line block ×4, first 2 shown]
	v_mov_b32_e32 v9, s4
	v_add_co_u32_e32 v8, vcc, s5, v12
	v_addc_co_u32_e32 v9, vcc, v13, v9, vcc
	global_store_dwordx4 v[8:9], v[0:3], off
	s_nop 0
	v_mov_b32_e32 v1, s2
	v_add_co_u32_e32 v0, vcc, s3, v8
	v_addc_co_u32_e32 v1, vcc, v9, v1, vcc
	global_store_dwordx4 v[0:1], v[4:7], off
.LBB0_10:
	s_endpgm
	.section	.rodata,"a",@progbits
	.p2align	6, 0x0
	.amdhsa_kernel bluestein_single_fwd_len110_dim1_dp_op_CI_CI
		.amdhsa_group_segment_fixed_size 31680
		.amdhsa_private_segment_fixed_size 164
		.amdhsa_kernarg_size 104
		.amdhsa_user_sgpr_count 6
		.amdhsa_user_sgpr_private_segment_buffer 1
		.amdhsa_user_sgpr_dispatch_ptr 0
		.amdhsa_user_sgpr_queue_ptr 0
		.amdhsa_user_sgpr_kernarg_segment_ptr 1
		.amdhsa_user_sgpr_dispatch_id 0
		.amdhsa_user_sgpr_flat_scratch_init 0
		.amdhsa_user_sgpr_private_segment_size 0
		.amdhsa_uses_dynamic_stack 0
		.amdhsa_system_sgpr_private_segment_wavefront_offset 1
		.amdhsa_system_sgpr_workgroup_id_x 1
		.amdhsa_system_sgpr_workgroup_id_y 0
		.amdhsa_system_sgpr_workgroup_id_z 0
		.amdhsa_system_sgpr_workgroup_info 0
		.amdhsa_system_vgpr_workitem_id 0
		.amdhsa_next_free_vgpr 256
		.amdhsa_next_free_sgpr 48
		.amdhsa_reserve_vcc 1
		.amdhsa_reserve_flat_scratch 0
		.amdhsa_float_round_mode_32 0
		.amdhsa_float_round_mode_16_64 0
		.amdhsa_float_denorm_mode_32 3
		.amdhsa_float_denorm_mode_16_64 3
		.amdhsa_dx10_clamp 1
		.amdhsa_ieee_mode 1
		.amdhsa_fp16_overflow 0
		.amdhsa_exception_fp_ieee_invalid_op 0
		.amdhsa_exception_fp_denorm_src 0
		.amdhsa_exception_fp_ieee_div_zero 0
		.amdhsa_exception_fp_ieee_overflow 0
		.amdhsa_exception_fp_ieee_underflow 0
		.amdhsa_exception_fp_ieee_inexact 0
		.amdhsa_exception_int_div_zero 0
	.end_amdhsa_kernel
	.text
.Lfunc_end0:
	.size	bluestein_single_fwd_len110_dim1_dp_op_CI_CI, .Lfunc_end0-bluestein_single_fwd_len110_dim1_dp_op_CI_CI
                                        ; -- End function
	.section	.AMDGPU.csdata,"",@progbits
; Kernel info:
; codeLenInByte = 13440
; NumSgprs: 52
; NumVgprs: 256
; ScratchSize: 164
; MemoryBound: 0
; FloatMode: 240
; IeeeMode: 1
; LDSByteSize: 31680 bytes/workgroup (compile time only)
; SGPRBlocks: 6
; VGPRBlocks: 63
; NumSGPRsForWavesPerEU: 52
; NumVGPRsForWavesPerEU: 256
; Occupancy: 1
; WaveLimiterHint : 1
; COMPUTE_PGM_RSRC2:SCRATCH_EN: 1
; COMPUTE_PGM_RSRC2:USER_SGPR: 6
; COMPUTE_PGM_RSRC2:TRAP_HANDLER: 0
; COMPUTE_PGM_RSRC2:TGID_X_EN: 1
; COMPUTE_PGM_RSRC2:TGID_Y_EN: 0
; COMPUTE_PGM_RSRC2:TGID_Z_EN: 0
; COMPUTE_PGM_RSRC2:TIDIG_COMP_CNT: 0
	.type	__hip_cuid_4f3b6f458a9a2bab,@object ; @__hip_cuid_4f3b6f458a9a2bab
	.section	.bss,"aw",@nobits
	.globl	__hip_cuid_4f3b6f458a9a2bab
__hip_cuid_4f3b6f458a9a2bab:
	.byte	0                               ; 0x0
	.size	__hip_cuid_4f3b6f458a9a2bab, 1

	.ident	"AMD clang version 19.0.0git (https://github.com/RadeonOpenCompute/llvm-project roc-6.4.0 25133 c7fe45cf4b819c5991fe208aaa96edf142730f1d)"
	.section	".note.GNU-stack","",@progbits
	.addrsig
	.addrsig_sym __hip_cuid_4f3b6f458a9a2bab
	.amdgpu_metadata
---
amdhsa.kernels:
  - .args:
      - .actual_access:  read_only
        .address_space:  global
        .offset:         0
        .size:           8
        .value_kind:     global_buffer
      - .actual_access:  read_only
        .address_space:  global
        .offset:         8
        .size:           8
        .value_kind:     global_buffer
      - .actual_access:  read_only
        .address_space:  global
        .offset:         16
        .size:           8
        .value_kind:     global_buffer
      - .actual_access:  read_only
        .address_space:  global
        .offset:         24
        .size:           8
        .value_kind:     global_buffer
      - .actual_access:  read_only
        .address_space:  global
        .offset:         32
        .size:           8
        .value_kind:     global_buffer
      - .offset:         40
        .size:           8
        .value_kind:     by_value
      - .address_space:  global
        .offset:         48
        .size:           8
        .value_kind:     global_buffer
      - .address_space:  global
        .offset:         56
        .size:           8
        .value_kind:     global_buffer
      - .address_space:  global
        .offset:         64
        .size:           8
        .value_kind:     global_buffer
      - .address_space:  global
        .offset:         72
        .size:           8
        .value_kind:     global_buffer
      - .offset:         80
        .size:           4
        .value_kind:     by_value
      - .address_space:  global
        .offset:         88
        .size:           8
        .value_kind:     global_buffer
      - .address_space:  global
        .offset:         96
        .size:           8
        .value_kind:     global_buffer
    .group_segment_fixed_size: 31680
    .kernarg_segment_align: 8
    .kernarg_segment_size: 104
    .language:       OpenCL C
    .language_version:
      - 2
      - 0
    .max_flat_workgroup_size: 198
    .name:           bluestein_single_fwd_len110_dim1_dp_op_CI_CI
    .private_segment_fixed_size: 164
    .sgpr_count:     52
    .sgpr_spill_count: 0
    .symbol:         bluestein_single_fwd_len110_dim1_dp_op_CI_CI.kd
    .uniform_work_group_size: 1
    .uses_dynamic_stack: false
    .vgpr_count:     256
    .vgpr_spill_count: 40
    .wavefront_size: 64
amdhsa.target:   amdgcn-amd-amdhsa--gfx906
amdhsa.version:
  - 1
  - 2
...

	.end_amdgpu_metadata
